;; amdgpu-corpus repo=ROCm/rocFFT kind=compiled arch=gfx906 opt=O3
	.text
	.amdgcn_target "amdgcn-amd-amdhsa--gfx906"
	.amdhsa_code_object_version 6
	.protected	fft_rtc_fwd_len1680_factors_2_2_2_2_3_7_5_wgs_112_tpt_112_halfLds_half_op_CI_CI_unitstride_sbrr_dirReg ; -- Begin function fft_rtc_fwd_len1680_factors_2_2_2_2_3_7_5_wgs_112_tpt_112_halfLds_half_op_CI_CI_unitstride_sbrr_dirReg
	.globl	fft_rtc_fwd_len1680_factors_2_2_2_2_3_7_5_wgs_112_tpt_112_halfLds_half_op_CI_CI_unitstride_sbrr_dirReg
	.p2align	8
	.type	fft_rtc_fwd_len1680_factors_2_2_2_2_3_7_5_wgs_112_tpt_112_halfLds_half_op_CI_CI_unitstride_sbrr_dirReg,@function
fft_rtc_fwd_len1680_factors_2_2_2_2_3_7_5_wgs_112_tpt_112_halfLds_half_op_CI_CI_unitstride_sbrr_dirReg: ; @fft_rtc_fwd_len1680_factors_2_2_2_2_3_7_5_wgs_112_tpt_112_halfLds_half_op_CI_CI_unitstride_sbrr_dirReg
; %bb.0:
	s_load_dwordx4 s[8:11], s[4:5], 0x58
	s_load_dwordx4 s[12:15], s[4:5], 0x0
	;; [unrolled: 1-line block ×3, first 2 shown]
	v_mul_u32_u24_e32 v1, 0x24a, v0
	v_mov_b32_e32 v7, 0
	v_mov_b32_e32 v5, 0
	s_waitcnt lgkmcnt(0)
	v_cmp_lt_u64_e64 s[0:1], s[14:15], 2
	v_add_u32_sdwa v9, s6, v1 dst_sel:DWORD dst_unused:UNUSED_PAD src0_sel:DWORD src1_sel:WORD_1
	v_mov_b32_e32 v10, v7
	s_and_b64 vcc, exec, s[0:1]
	v_mov_b32_e32 v6, 0
	s_cbranch_vccnz .LBB0_8
; %bb.1:
	s_load_dwordx2 s[0:1], s[4:5], 0x10
	s_add_u32 s2, s18, 8
	s_addc_u32 s3, s19, 0
	s_add_u32 s6, s16, 8
	s_addc_u32 s7, s17, 0
	v_mov_b32_e32 v5, 0
	s_waitcnt lgkmcnt(0)
	s_add_u32 s20, s0, 8
	v_mov_b32_e32 v6, 0
	v_mov_b32_e32 v1, v5
	s_addc_u32 s21, s1, 0
	s_mov_b64 s[22:23], 1
	v_mov_b32_e32 v2, v6
.LBB0_2:                                ; =>This Inner Loop Header: Depth=1
	s_load_dwordx2 s[24:25], s[20:21], 0x0
                                        ; implicit-def: $vgpr3_vgpr4
	s_waitcnt lgkmcnt(0)
	v_or_b32_e32 v8, s25, v10
	v_cmp_ne_u64_e32 vcc, 0, v[7:8]
	s_and_saveexec_b64 s[0:1], vcc
	s_xor_b64 s[26:27], exec, s[0:1]
	s_cbranch_execz .LBB0_4
; %bb.3:                                ;   in Loop: Header=BB0_2 Depth=1
	v_cvt_f32_u32_e32 v3, s24
	v_cvt_f32_u32_e32 v4, s25
	s_sub_u32 s0, 0, s24
	s_subb_u32 s1, 0, s25
	v_mac_f32_e32 v3, 0x4f800000, v4
	v_rcp_f32_e32 v3, v3
	v_mul_f32_e32 v3, 0x5f7ffffc, v3
	v_mul_f32_e32 v4, 0x2f800000, v3
	v_trunc_f32_e32 v4, v4
	v_mac_f32_e32 v3, 0xcf800000, v4
	v_cvt_u32_f32_e32 v4, v4
	v_cvt_u32_f32_e32 v3, v3
	v_mul_lo_u32 v8, s0, v4
	v_mul_hi_u32 v11, s0, v3
	v_mul_lo_u32 v13, s1, v3
	v_mul_lo_u32 v12, s0, v3
	v_add_u32_e32 v8, v11, v8
	v_add_u32_e32 v8, v8, v13
	v_mul_hi_u32 v11, v3, v12
	v_mul_lo_u32 v13, v3, v8
	v_mul_hi_u32 v15, v3, v8
	v_mul_hi_u32 v14, v4, v12
	v_mul_lo_u32 v12, v4, v12
	v_mul_hi_u32 v16, v4, v8
	v_add_co_u32_e32 v11, vcc, v11, v13
	v_addc_co_u32_e32 v13, vcc, 0, v15, vcc
	v_mul_lo_u32 v8, v4, v8
	v_add_co_u32_e32 v11, vcc, v11, v12
	v_addc_co_u32_e32 v11, vcc, v13, v14, vcc
	v_addc_co_u32_e32 v12, vcc, 0, v16, vcc
	v_add_co_u32_e32 v8, vcc, v11, v8
	v_addc_co_u32_e32 v11, vcc, 0, v12, vcc
	v_add_co_u32_e32 v3, vcc, v3, v8
	v_addc_co_u32_e32 v4, vcc, v4, v11, vcc
	v_mul_lo_u32 v8, s0, v4
	v_mul_hi_u32 v11, s0, v3
	v_mul_lo_u32 v12, s1, v3
	v_mul_lo_u32 v13, s0, v3
	v_add_u32_e32 v8, v11, v8
	v_add_u32_e32 v8, v8, v12
	v_mul_lo_u32 v14, v3, v8
	v_mul_hi_u32 v15, v3, v13
	v_mul_hi_u32 v16, v3, v8
	v_mul_hi_u32 v12, v4, v13
	v_mul_lo_u32 v13, v4, v13
	v_mul_hi_u32 v11, v4, v8
	v_add_co_u32_e32 v14, vcc, v15, v14
	v_addc_co_u32_e32 v15, vcc, 0, v16, vcc
	v_mul_lo_u32 v8, v4, v8
	v_add_co_u32_e32 v13, vcc, v14, v13
	v_addc_co_u32_e32 v12, vcc, v15, v12, vcc
	v_addc_co_u32_e32 v11, vcc, 0, v11, vcc
	v_add_co_u32_e32 v8, vcc, v12, v8
	v_addc_co_u32_e32 v11, vcc, 0, v11, vcc
	v_add_co_u32_e32 v8, vcc, v3, v8
	v_addc_co_u32_e32 v11, vcc, v4, v11, vcc
	v_mad_u64_u32 v[3:4], s[0:1], v9, v11, 0
	v_mul_hi_u32 v12, v9, v8
	v_add_co_u32_e32 v13, vcc, v12, v3
	v_addc_co_u32_e32 v14, vcc, 0, v4, vcc
	v_mad_u64_u32 v[3:4], s[0:1], v10, v8, 0
	v_mad_u64_u32 v[11:12], s[0:1], v10, v11, 0
	v_add_co_u32_e32 v3, vcc, v13, v3
	v_addc_co_u32_e32 v3, vcc, v14, v4, vcc
	v_addc_co_u32_e32 v4, vcc, 0, v12, vcc
	v_add_co_u32_e32 v8, vcc, v3, v11
	v_addc_co_u32_e32 v11, vcc, 0, v4, vcc
	v_mul_lo_u32 v12, s25, v8
	v_mul_lo_u32 v13, s24, v11
	v_mad_u64_u32 v[3:4], s[0:1], s24, v8, 0
	v_add3_u32 v4, v4, v13, v12
	v_sub_u32_e32 v12, v10, v4
	v_mov_b32_e32 v13, s25
	v_sub_co_u32_e32 v3, vcc, v9, v3
	v_subb_co_u32_e64 v12, s[0:1], v12, v13, vcc
	v_subrev_co_u32_e64 v13, s[0:1], s24, v3
	v_subbrev_co_u32_e64 v12, s[0:1], 0, v12, s[0:1]
	v_cmp_le_u32_e64 s[0:1], s25, v12
	v_cndmask_b32_e64 v14, 0, -1, s[0:1]
	v_cmp_le_u32_e64 s[0:1], s24, v13
	v_cndmask_b32_e64 v13, 0, -1, s[0:1]
	v_cmp_eq_u32_e64 s[0:1], s25, v12
	v_cndmask_b32_e64 v12, v14, v13, s[0:1]
	v_add_co_u32_e64 v13, s[0:1], 2, v8
	v_addc_co_u32_e64 v14, s[0:1], 0, v11, s[0:1]
	v_add_co_u32_e64 v15, s[0:1], 1, v8
	v_addc_co_u32_e64 v16, s[0:1], 0, v11, s[0:1]
	v_subb_co_u32_e32 v4, vcc, v10, v4, vcc
	v_cmp_ne_u32_e64 s[0:1], 0, v12
	v_cmp_le_u32_e32 vcc, s25, v4
	v_cndmask_b32_e64 v12, v16, v14, s[0:1]
	v_cndmask_b32_e64 v14, 0, -1, vcc
	v_cmp_le_u32_e32 vcc, s24, v3
	v_cndmask_b32_e64 v3, 0, -1, vcc
	v_cmp_eq_u32_e32 vcc, s25, v4
	v_cndmask_b32_e32 v3, v14, v3, vcc
	v_cmp_ne_u32_e32 vcc, 0, v3
	v_cndmask_b32_e64 v3, v15, v13, s[0:1]
	v_cndmask_b32_e32 v4, v11, v12, vcc
	v_cndmask_b32_e32 v3, v8, v3, vcc
.LBB0_4:                                ;   in Loop: Header=BB0_2 Depth=1
	s_andn2_saveexec_b64 s[0:1], s[26:27]
	s_cbranch_execz .LBB0_6
; %bb.5:                                ;   in Loop: Header=BB0_2 Depth=1
	v_cvt_f32_u32_e32 v3, s24
	s_sub_i32 s26, 0, s24
	v_rcp_iflag_f32_e32 v3, v3
	v_mul_f32_e32 v3, 0x4f7ffffe, v3
	v_cvt_u32_f32_e32 v3, v3
	v_mul_lo_u32 v4, s26, v3
	v_mul_hi_u32 v4, v3, v4
	v_add_u32_e32 v3, v3, v4
	v_mul_hi_u32 v3, v9, v3
	v_mul_lo_u32 v4, v3, s24
	v_add_u32_e32 v8, 1, v3
	v_sub_u32_e32 v4, v9, v4
	v_subrev_u32_e32 v11, s24, v4
	v_cmp_le_u32_e32 vcc, s24, v4
	v_cndmask_b32_e32 v4, v4, v11, vcc
	v_cndmask_b32_e32 v3, v3, v8, vcc
	v_add_u32_e32 v8, 1, v3
	v_cmp_le_u32_e32 vcc, s24, v4
	v_cndmask_b32_e32 v3, v3, v8, vcc
	v_mov_b32_e32 v4, v7
.LBB0_6:                                ;   in Loop: Header=BB0_2 Depth=1
	s_or_b64 exec, exec, s[0:1]
	v_mul_lo_u32 v8, v4, s24
	v_mul_lo_u32 v13, v3, s25
	v_mad_u64_u32 v[11:12], s[0:1], v3, s24, 0
	s_load_dwordx2 s[0:1], s[6:7], 0x0
	s_load_dwordx2 s[24:25], s[2:3], 0x0
	v_add3_u32 v8, v12, v13, v8
	v_sub_co_u32_e32 v9, vcc, v9, v11
	v_subb_co_u32_e32 v8, vcc, v10, v8, vcc
	s_waitcnt lgkmcnt(0)
	v_mul_lo_u32 v10, s0, v8
	v_mul_lo_u32 v11, s1, v9
	v_mad_u64_u32 v[5:6], s[0:1], s0, v9, v[5:6]
	v_mul_lo_u32 v8, s24, v8
	v_mul_lo_u32 v12, s25, v9
	v_mad_u64_u32 v[1:2], s[0:1], s24, v9, v[1:2]
	s_add_u32 s22, s22, 1
	s_addc_u32 s23, s23, 0
	s_add_u32 s2, s2, 8
	v_add3_u32 v2, v12, v2, v8
	s_addc_u32 s3, s3, 0
	v_mov_b32_e32 v8, s14
	s_add_u32 s6, s6, 8
	v_mov_b32_e32 v9, s15
	s_addc_u32 s7, s7, 0
	v_cmp_ge_u64_e32 vcc, s[22:23], v[8:9]
	s_add_u32 s20, s20, 8
	v_add3_u32 v6, v11, v6, v10
	s_addc_u32 s21, s21, 0
	s_cbranch_vccnz .LBB0_9
; %bb.7:                                ;   in Loop: Header=BB0_2 Depth=1
	v_mov_b32_e32 v10, v4
	v_mov_b32_e32 v9, v3
	s_branch .LBB0_2
.LBB0_8:
	v_mov_b32_e32 v1, v5
	v_mov_b32_e32 v3, v9
	;; [unrolled: 1-line block ×4, first 2 shown]
.LBB0_9:
	s_load_dwordx2 s[4:5], s[4:5], 0x28
	s_lshl_b64 s[6:7], s[14:15], 3
	s_add_u32 s2, s18, s6
	s_addc_u32 s3, s19, s7
                                        ; implicit-def: $vgpr7
	s_waitcnt lgkmcnt(0)
	v_cmp_gt_u64_e64 s[0:1], s[4:5], v[3:4]
	v_cmp_le_u64_e32 vcc, s[4:5], v[3:4]
	s_and_saveexec_b64 s[4:5], vcc
	s_xor_b64 s[4:5], exec, s[4:5]
; %bb.10:
	s_mov_b32 s14, 0x2492493
	v_mul_hi_u32 v5, v0, s14
	v_mul_u32_u24_e32 v5, 0x70, v5
	v_sub_u32_e32 v7, v0, v5
                                        ; implicit-def: $vgpr0
                                        ; implicit-def: $vgpr5_vgpr6
; %bb.11:
	s_or_saveexec_b64 s[4:5], s[4:5]
	s_load_dwordx2 s[2:3], s[2:3], 0x0
                                        ; implicit-def: $vgpr12
                                        ; implicit-def: $vgpr8
                                        ; implicit-def: $vgpr13
                                        ; implicit-def: $vgpr21
                                        ; implicit-def: $vgpr14
                                        ; implicit-def: $vgpr9
                                        ; implicit-def: $vgpr15
                                        ; implicit-def: $vgpr23
                                        ; implicit-def: $vgpr16
                                        ; implicit-def: $vgpr17
                                        ; implicit-def: $vgpr18
                                        ; implicit-def: $vgpr25
                                        ; implicit-def: $vgpr20
                                        ; implicit-def: $vgpr19
                                        ; implicit-def: $vgpr28
                                        ; implicit-def: $vgpr26
                                        ; implicit-def: $vgpr29
                                        ; implicit-def: $vgpr22
                                        ; implicit-def: $vgpr31
                                        ; implicit-def: $vgpr30
                                        ; implicit-def: $vgpr32
                                        ; implicit-def: $vgpr24
                                        ; implicit-def: $vgpr33
                                        ; implicit-def: $vgpr36
                                        ; implicit-def: $vgpr34
                                        ; implicit-def: $vgpr27
                                        ; implicit-def: $vgpr35
                                        ; implicit-def: $vgpr37
                                        ; implicit-def: $vgpr10
                                        ; implicit-def: $vgpr38
                                        ; implicit-def: $vgpr11
                                        ; implicit-def: $vgpr39
	s_xor_b64 exec, exec, s[4:5]
	s_cbranch_execz .LBB0_15
; %bb.12:
	s_add_u32 s6, s16, s6
	s_addc_u32 s7, s17, s7
	s_load_dwordx2 s[6:7], s[6:7], 0x0
	s_mov_b32 s14, 0x2492493
	v_mul_hi_u32 v7, v0, s14
	v_lshlrev_b64 v[5:6], 2, v[5:6]
                                        ; implicit-def: $vgpr39
                                        ; implicit-def: $vgpr38
	s_waitcnt lgkmcnt(0)
	v_mul_lo_u32 v10, s7, v3
	v_mul_lo_u32 v11, s6, v4
	v_mad_u64_u32 v[8:9], s[6:7], s6, v3, 0
	v_mul_u32_u24_e32 v7, 0x70, v7
	v_sub_u32_e32 v7, v0, v7
	v_add3_u32 v9, v9, v11, v10
	v_lshlrev_b64 v[8:9], 2, v[8:9]
	v_mov_b32_e32 v0, s9
	v_add_co_u32_e32 v8, vcc, s8, v8
	v_addc_co_u32_e32 v0, vcc, v0, v9, vcc
	v_add_co_u32_e32 v5, vcc, v8, v5
	v_addc_co_u32_e32 v0, vcc, v0, v6, vcc
	v_lshlrev_b32_e32 v6, 2, v7
	v_add_co_u32_e32 v5, vcc, v5, v6
	v_addc_co_u32_e32 v6, vcc, 0, v0, vcc
	s_movk_i32 s6, 0x1000
	v_add_co_u32_e32 v10, vcc, s6, v5
	v_addc_co_u32_e32 v11, vcc, 0, v6, vcc
	global_load_dword v8, v[5:6], off
	global_load_dword v9, v[5:6], off offset:448
	global_load_dword v17, v[5:6], off offset:896
	;; [unrolled: 1-line block ×13, first 2 shown]
	v_cmp_gt_u32_e32 vcc, 56, v7
                                        ; implicit-def: $vgpr11
                                        ; implicit-def: $vgpr10
	s_and_saveexec_b64 s[6:7], vcc
	s_cbranch_execz .LBB0_14
; %bb.13:
	v_add_co_u32_e32 v10, vcc, 0x1000, v5
	v_addc_co_u32_e32 v11, vcc, 0, v6, vcc
	global_load_dword v38, v[5:6], off offset:3136
	global_load_dword v39, v[10:11], off offset:2400
	s_waitcnt vmcnt(1)
	v_lshrrev_b32_e32 v10, 16, v38
	s_waitcnt vmcnt(0)
	v_lshrrev_b32_e32 v11, 16, v39
.LBB0_14:
	s_or_b64 exec, exec, s[6:7]
	s_waitcnt vmcnt(13)
	v_lshrrev_b32_e32 v12, 16, v8
	s_waitcnt vmcnt(7)
	v_lshrrev_b32_e32 v13, 16, v21
	v_lshrrev_b32_e32 v14, 16, v9
	s_waitcnt vmcnt(5)
	v_lshrrev_b32_e32 v15, 16, v23
	;; [unrolled: 3-line block ×7, first 2 shown]
.LBB0_15:
	s_or_b64 exec, exec, s[4:5]
	v_sub_f16_e32 v0, v8, v21
	v_fma_f16 v5, v8, 2.0, -v0
	v_sub_f16_e32 v6, v9, v23
	v_sub_f16_e32 v23, v19, v26
	v_fma_f16 v9, v9, 2.0, -v6
	v_sub_f16_e32 v21, v17, v25
	v_fma_f16 v25, v19, 2.0, -v23
	v_sub_f16_e32 v42, v27, v37
	v_sub_f16_e32 v19, v38, v39
	v_lshl_add_u32 v37, v7, 2, 0
	v_pack_b32_f16 v0, v5, v0
	v_add_u32_e32 v8, 0x70, v7
	v_fma_f16 v17, v17, 2.0, -v21
	v_sub_f16_e32 v26, v22, v30
	v_fma_f16 v30, v38, 2.0, -v19
	ds_write_b32 v37, v0
	v_lshl_add_u32 v38, v8, 2, 0
	v_pack_b32_f16 v0, v9, v6
	v_add_u32_e32 v5, 0xe0, v7
	ds_write_b32 v38, v0
	v_lshl_add_u32 v39, v5, 2, 0
	v_pack_b32_f16 v0, v17, v21
	v_add_u32_e32 v9, 0x150, v7
	v_fma_f16 v22, v22, 2.0, -v26
	v_sub_f16_e32 v36, v24, v36
	ds_write_b32 v39, v0
	v_lshl_add_u32 v40, v9, 2, 0
	v_pack_b32_f16 v0, v25, v23
	v_add_u32_e32 v6, 0x1c0, v7
	v_fma_f16 v24, v24, 2.0, -v36
	ds_write_b32 v40, v0
	v_lshl_add_u32 v41, v6, 2, 0
	v_pack_b32_f16 v0, v22, v26
	v_add_u32_e32 v44, 0x230, v7
	v_fma_f16 v27, v27, 2.0, -v42
	ds_write_b32 v41, v0
	v_lshl_add_u32 v43, v44, 2, 0
	v_pack_b32_f16 v0, v24, v36
	v_add_u32_e32 v52, 0x2a0, v7
	v_add_u32_e32 v17, 0x310, v7
	ds_write_b32 v43, v0
	v_lshl_add_u32 v45, v52, 2, 0
	v_pack_b32_f16 v0, v27, v42
	v_cmp_gt_u32_e32 vcc, 56, v7
	v_lshl_add_u32 v42, v17, 2, 0
	ds_write_b32 v45, v0
	s_and_saveexec_b64 s[4:5], vcc
	s_cbranch_execz .LBB0_17
; %bb.16:
	s_mov_b32 s6, 0x5040100
	v_perm_b32 v0, v19, v30, s6
	ds_write_b32 v42, v0
.LBB0_17:
	s_or_b64 exec, exec, s[4:5]
	v_lshl_add_u32 v0, v7, 1, 0
	s_waitcnt lgkmcnt(0)
	s_barrier
	ds_read_u16 v36, v0
	ds_read_u16 v53, v0 offset:224
	ds_read_u16 v54, v0 offset:448
	;; [unrolled: 1-line block ×13, first 2 shown]
	s_and_saveexec_b64 s[4:5], vcc
	s_cbranch_execz .LBB0_19
; %bb.18:
	ds_read_u16 v30, v0 offset:1568
	ds_read_u16 v19, v0 offset:3248
.LBB0_19:
	s_or_b64 exec, exec, s[4:5]
	v_sub_f16_e32 v13, v12, v13
	v_sub_f16_e32 v31, v29, v31
	v_fma_f16 v12, v12, 2.0, -v13
	v_sub_f16_e32 v15, v14, v15
	v_fma_f16 v47, v29, 2.0, -v31
	;; [unrolled: 2-line block ×3, first 2 shown]
	v_sub_f16_e32 v18, v16, v18
	v_sub_f16_e32 v46, v20, v28
	v_fma_f16 v28, v10, 2.0, -v29
	v_pack_b32_f16 v10, v12, v13
	v_fma_f16 v16, v16, 2.0, -v18
	s_waitcnt lgkmcnt(0)
	s_barrier
	ds_write_b32 v37, v10
	v_pack_b32_f16 v10, v14, v15
	v_fma_f16 v20, v20, 2.0, -v46
	ds_write_b32 v38, v10
	v_pack_b32_f16 v10, v16, v18
	v_sub_f16_e32 v33, v32, v33
	ds_write_b32 v39, v10
	v_pack_b32_f16 v10, v20, v46
	v_fma_f16 v32, v32, 2.0, -v33
	v_sub_f16_e32 v35, v34, v35
	ds_write_b32 v40, v10
	v_pack_b32_f16 v10, v47, v31
	v_fma_f16 v34, v34, 2.0, -v35
	ds_write_b32 v41, v10
	v_pack_b32_f16 v10, v32, v33
	ds_write_b32 v43, v10
	v_pack_b32_f16 v10, v34, v35
	ds_write_b32 v45, v10
	s_and_saveexec_b64 s[4:5], vcc
	s_cbranch_execz .LBB0_21
; %bb.20:
	s_mov_b32 s6, 0x5040100
	v_perm_b32 v10, v29, v28, s6
	ds_write_b32 v42, v10
.LBB0_21:
	s_or_b64 exec, exec, s[4:5]
	s_waitcnt lgkmcnt(0)
	s_barrier
	ds_read_u16 v37, v0
	ds_read_u16 v38, v0 offset:224
	ds_read_u16 v39, v0 offset:448
	;; [unrolled: 1-line block ×13, first 2 shown]
	v_lshlrev_b32_e32 v10, 1, v7
	v_lshlrev_b32_e32 v11, 1, v8
	;; [unrolled: 1-line block ×7, first 2 shown]
	s_and_saveexec_b64 s[4:5], vcc
	s_cbranch_execz .LBB0_23
; %bb.22:
	ds_read_u16 v28, v0 offset:1568
	ds_read_u16 v29, v0 offset:3248
.LBB0_23:
	s_or_b64 exec, exec, s[4:5]
	v_and_b32_e32 v44, 1, v7
	v_lshlrev_b32_e32 v18, 2, v44
	global_load_dword v52, v18, s[12:13]
	s_movk_i32 s4, 0xfc
	s_waitcnt vmcnt(0) lgkmcnt(0)
	s_barrier
	s_movk_i32 s5, 0x5fc
	v_lshlrev_b32_e32 v17, 1, v17
	v_mul_f16_sdwa v18, v49, v52 dst_sel:DWORD dst_unused:UNUSED_PAD src0_sel:DWORD src1_sel:WORD_1
	v_mul_f16_sdwa v59, v29, v52 dst_sel:DWORD dst_unused:UNUSED_PAD src0_sel:DWORD src1_sel:WORD_1
	v_fma_f16 v18, v25, v52, -v18
	v_mul_f16_sdwa v20, v51, v52 dst_sel:DWORD dst_unused:UNUSED_PAD src0_sel:DWORD src1_sel:WORD_1
	v_fma_f16 v59, v19, v52, -v59
	v_fma_f16 v20, v27, v52, -v20
	v_sub_f16_e32 v61, v36, v18
	v_sub_f16_e32 v18, v30, v59
	;; [unrolled: 1-line block ×3, first 2 shown]
	v_fma_f16 v20, v30, 2.0, -v18
	v_and_or_b32 v30, v10, s4, v44
	s_movk_i32 s4, 0x1fc
	v_fma_f16 v36, v36, 2.0, -v61
	v_lshl_add_u32 v60, v30, 1, 0
	v_and_or_b32 v30, v11, s4, v44
	s_movk_i32 s4, 0x3fc
	v_fma_f16 v53, v53, 2.0, -v62
	ds_write_b16 v60, v36
	ds_write_b16 v60, v61 offset:4
	v_lshl_add_u32 v61, v30, 1, 0
	v_and_or_b32 v30, v12, s4, v44
	ds_write_b16 v61, v53
	ds_write_b16 v61, v62 offset:4
	v_lshl_add_u32 v62, v30, 1, 0
	v_and_or_b32 v30, v14, s4, v44
	s_movk_i32 s4, 0x7fc
	v_mul_f16_sdwa v31, v50, v52 dst_sel:DWORD dst_unused:UNUSED_PAD src0_sel:DWORD src1_sel:WORD_1
	v_mul_f16_sdwa v32, v48, v52 dst_sel:DWORD dst_unused:UNUSED_PAD src0_sel:DWORD src1_sel:WORD_1
	;; [unrolled: 1-line block ×5, first 2 shown]
	v_lshl_add_u32 v63, v30, 1, 0
	v_and_or_b32 v30, v15, s4, v44
	v_fma_f16 v31, v26, v52, -v31
	v_fma_f16 v32, v24, v52, -v32
	;; [unrolled: 1-line block ×5, first 2 shown]
	v_lshl_add_u32 v64, v30, 1, 0
	v_and_or_b32 v30, v16, s5, v44
	v_sub_f16_e32 v31, v54, v31
	v_sub_f16_e32 v32, v55, v32
	;; [unrolled: 1-line block ×5, first 2 shown]
	v_lshl_add_u32 v65, v30, 1, 0
	v_and_or_b32 v30, v13, s4, v44
	v_fma_f16 v54, v54, 2.0, -v31
	v_fma_f16 v55, v55, 2.0, -v32
	;; [unrolled: 1-line block ×5, first 2 shown]
	v_lshl_add_u32 v66, v30, 1, 0
	ds_write_b16 v62, v54
	ds_write_b16 v62, v31 offset:4
	ds_write_b16 v63, v55
	ds_write_b16 v63, v32 offset:4
	;; [unrolled: 2-line block ×5, first 2 shown]
	s_and_saveexec_b64 s[4:5], vcc
	s_cbranch_execz .LBB0_25
; %bb.24:
	s_movk_i32 s6, 0x6fc
	v_and_or_b32 v30, v17, s6, v44
	v_lshl_add_u32 v30, v30, 1, 0
	ds_write_b16 v30, v20
	ds_write_b16 v30, v18 offset:4
.LBB0_25:
	s_or_b64 exec, exec, s[4:5]
	s_waitcnt lgkmcnt(0)
	s_barrier
	ds_read_u16 v53, v0
	ds_read_u16 v54, v0 offset:224
	ds_read_u16 v55, v0 offset:448
	;; [unrolled: 1-line block ×13, first 2 shown]
	s_and_saveexec_b64 s[4:5], vcc
	s_cbranch_execz .LBB0_27
; %bb.26:
	ds_read_u16 v20, v0 offset:1568
	ds_read_u16 v18, v0 offset:3248
.LBB0_27:
	s_or_b64 exec, exec, s[4:5]
	v_mul_f16_sdwa v25, v25, v52 dst_sel:DWORD dst_unused:UNUSED_PAD src0_sel:DWORD src1_sel:WORD_1
	v_mul_f16_sdwa v19, v19, v52 dst_sel:DWORD dst_unused:UNUSED_PAD src0_sel:DWORD src1_sel:WORD_1
	v_fma_f16 v25, v49, v52, v25
	v_mul_f16_sdwa v27, v27, v52 dst_sel:DWORD dst_unused:UNUSED_PAD src0_sel:DWORD src1_sel:WORD_1
	v_mul_f16_sdwa v26, v26, v52 dst_sel:DWORD dst_unused:UNUSED_PAD src0_sel:DWORD src1_sel:WORD_1
	;; [unrolled: 1-line block ×6, first 2 shown]
	v_fma_f16 v19, v29, v52, v19
	v_fma_f16 v27, v51, v52, v27
	;; [unrolled: 1-line block ×7, first 2 shown]
	v_sub_f16_e32 v25, v37, v25
	v_sub_f16_e32 v29, v28, v19
	v_fma_f16 v37, v37, 2.0, -v25
	v_sub_f16_e32 v27, v38, v27
	v_sub_f16_e32 v26, v39, v26
	;; [unrolled: 1-line block ×6, first 2 shown]
	v_fma_f16 v21, v28, 2.0, -v29
	v_fma_f16 v38, v38, 2.0, -v27
	;; [unrolled: 1-line block ×7, first 2 shown]
	s_waitcnt lgkmcnt(0)
	s_barrier
	ds_write_b16 v60, v37
	ds_write_b16 v60, v25 offset:4
	ds_write_b16 v61, v38
	ds_write_b16 v61, v27 offset:4
	ds_write_b16 v62, v39
	ds_write_b16 v62, v26 offset:4
	ds_write_b16 v63, v40
	ds_write_b16 v63, v24 offset:4
	ds_write_b16 v64, v41
	ds_write_b16 v64, v23 offset:4
	ds_write_b16 v65, v42
	ds_write_b16 v65, v22 offset:4
	ds_write_b16 v66, v43
	ds_write_b16 v66, v45 offset:4
	s_and_saveexec_b64 s[4:5], vcc
	s_cbranch_execz .LBB0_29
; %bb.28:
	s_movk_i32 s6, 0x6fc
	v_and_or_b32 v19, v17, s6, v44
	v_lshl_add_u32 v19, v19, 1, 0
	ds_write_b16 v19, v21
	ds_write_b16 v19, v29 offset:4
.LBB0_29:
	s_or_b64 exec, exec, s[4:5]
	s_waitcnt lgkmcnt(0)
	s_barrier
	ds_read_u16 v45, v0
	ds_read_u16 v46, v0 offset:224
	ds_read_u16 v47, v0 offset:448
	;; [unrolled: 1-line block ×13, first 2 shown]
	s_and_saveexec_b64 s[4:5], vcc
	s_cbranch_execz .LBB0_31
; %bb.30:
	ds_read_u16 v21, v0 offset:1568
	ds_read_u16 v29, v0 offset:3248
.LBB0_31:
	s_or_b64 exec, exec, s[4:5]
	v_and_b32_e32 v43, 3, v7
	v_lshlrev_b32_e32 v19, 2, v43
	global_load_dword v66, v19, s[12:13] offset:8
	s_movk_i32 s4, 0xf8
	s_movk_i32 s5, 0x1f8
	;; [unrolled: 1-line block ×5, first 2 shown]
	v_and_or_b32 v19, v10, s4, v43
	v_and_or_b32 v22, v11, s5, v43
	;; [unrolled: 1-line block ×7, first 2 shown]
	v_lshl_add_u32 v73, v19, 1, 0
	v_lshl_add_u32 v72, v22, 1, 0
	;; [unrolled: 1-line block ×7, first 2 shown]
	s_waitcnt vmcnt(0) lgkmcnt(0)
	s_barrier
	v_mul_f16_sdwa v19, v63, v66 dst_sel:DWORD dst_unused:UNUSED_PAD src0_sel:DWORD src1_sel:WORD_1
	v_mul_f16_sdwa v28, v29, v66 dst_sel:DWORD dst_unused:UNUSED_PAD src0_sel:DWORD src1_sel:WORD_1
	;; [unrolled: 1-line block ×8, first 2 shown]
	v_fma_f16 v19, v34, v66, -v19
	v_fma_f16 v28, v18, v66, -v28
	;; [unrolled: 1-line block ×8, first 2 shown]
	v_sub_f16_e32 v37, v53, v19
	v_sub_f16_e32 v19, v20, v28
	;; [unrolled: 1-line block ×8, first 2 shown]
	v_fma_f16 v20, v20, 2.0, -v19
	v_fma_f16 v28, v53, 2.0, -v37
	;; [unrolled: 1-line block ×8, first 2 shown]
	ds_write_b16 v73, v37 offset:8
	ds_write_b16 v73, v28
	ds_write_b16 v72, v38
	ds_write_b16 v72, v22 offset:8
	ds_write_b16 v71, v39
	ds_write_b16 v71, v23 offset:8
	;; [unrolled: 2-line block ×6, first 2 shown]
	s_and_saveexec_b64 s[4:5], vcc
	s_cbranch_execz .LBB0_33
; %bb.32:
	s_movk_i32 s6, 0x6f8
	v_and_or_b32 v22, v17, s6, v43
	v_lshl_add_u32 v22, v22, 1, 0
	ds_write_b16 v22, v20
	ds_write_b16 v22, v19 offset:8
.LBB0_33:
	s_or_b64 exec, exec, s[4:5]
	s_waitcnt lgkmcnt(0)
	s_barrier
	ds_read_u16 v37, v0
	ds_read_u16 v38, v0 offset:224
	ds_read_u16 v39, v0 offset:448
	;; [unrolled: 1-line block ×13, first 2 shown]
	s_and_saveexec_b64 s[4:5], vcc
	s_cbranch_execz .LBB0_35
; %bb.34:
	ds_read_u16 v20, v0 offset:1568
	ds_read_u16 v19, v0 offset:3248
.LBB0_35:
	s_or_b64 exec, exec, s[4:5]
	v_mul_f16_sdwa v34, v34, v66 dst_sel:DWORD dst_unused:UNUSED_PAD src0_sel:DWORD src1_sel:WORD_1
	v_mul_f16_sdwa v18, v18, v66 dst_sel:DWORD dst_unused:UNUSED_PAD src0_sel:DWORD src1_sel:WORD_1
	v_fma_f16 v34, v63, v66, v34
	v_mul_f16_sdwa v36, v36, v66 dst_sel:DWORD dst_unused:UNUSED_PAD src0_sel:DWORD src1_sel:WORD_1
	v_mul_f16_sdwa v35, v35, v66 dst_sel:DWORD dst_unused:UNUSED_PAD src0_sel:DWORD src1_sel:WORD_1
	;; [unrolled: 1-line block ×6, first 2 shown]
	v_fma_f16 v18, v29, v66, v18
	v_fma_f16 v36, v65, v66, v36
	;; [unrolled: 1-line block ×7, first 2 shown]
	v_sub_f16_e32 v34, v45, v34
	v_sub_f16_e32 v29, v21, v18
	v_fma_f16 v45, v45, 2.0, -v34
	v_sub_f16_e32 v36, v46, v36
	v_sub_f16_e32 v35, v47, v35
	;; [unrolled: 1-line block ×6, first 2 shown]
	v_fma_f16 v18, v21, 2.0, -v29
	v_fma_f16 v46, v46, 2.0, -v36
	v_fma_f16 v47, v47, 2.0, -v35
	v_fma_f16 v48, v48, 2.0, -v33
	v_fma_f16 v49, v49, 2.0, -v32
	v_fma_f16 v50, v50, 2.0, -v31
	v_fma_f16 v51, v51, 2.0, -v30
	s_waitcnt lgkmcnt(0)
	s_barrier
	ds_write_b16 v73, v45
	ds_write_b16 v73, v34 offset:8
	ds_write_b16 v72, v46
	ds_write_b16 v72, v36 offset:8
	;; [unrolled: 2-line block ×7, first 2 shown]
	s_and_saveexec_b64 s[4:5], vcc
	s_cbranch_execz .LBB0_37
; %bb.36:
	s_movk_i32 s6, 0x6f8
	v_and_or_b32 v21, v17, s6, v43
	v_lshl_add_u32 v21, v21, 1, 0
	ds_write_b16 v21, v18
	ds_write_b16 v21, v29 offset:8
.LBB0_37:
	s_or_b64 exec, exec, s[4:5]
	s_waitcnt lgkmcnt(0)
	s_barrier
	ds_read_u16 v30, v0
	ds_read_u16 v31, v0 offset:224
	ds_read_u16 v32, v0 offset:448
	;; [unrolled: 1-line block ×13, first 2 shown]
	s_and_saveexec_b64 s[4:5], vcc
	s_cbranch_execz .LBB0_39
; %bb.38:
	ds_read_u16 v18, v0 offset:1568
	ds_read_u16 v29, v0 offset:3248
.LBB0_39:
	s_or_b64 exec, exec, s[4:5]
	v_and_b32_e32 v21, 7, v7
	v_lshlrev_b32_e32 v51, 2, v21
	global_load_dword v51, v51, s[12:13] offset:24
	s_movk_i32 s4, 0xf0
	s_movk_i32 s5, 0x1f0
	;; [unrolled: 1-line block ×4, first 2 shown]
	v_and_or_b32 v10, v10, s4, v21
	v_and_or_b32 v11, v11, s5, v21
	;; [unrolled: 1-line block ×5, first 2 shown]
	s_movk_i32 s8, 0x5f0
	v_lshl_add_u32 v56, v10, 1, 0
	v_lshl_add_u32 v55, v11, 1, 0
	;; [unrolled: 1-line block ×5, first 2 shown]
	v_and_or_b32 v16, v16, s8, v21
	v_and_or_b32 v13, v13, s7, v21
	v_lshl_add_u32 v16, v16, 1, 0
	v_lshl_add_u32 v13, v13, 1, 0
	s_waitcnt vmcnt(0) lgkmcnt(0)
	s_barrier
	v_mul_f16_sdwa v10, v48, v51 dst_sel:DWORD dst_unused:UNUSED_PAD src0_sel:DWORD src1_sel:WORD_1
	v_mul_f16_sdwa v11, v50, v51 dst_sel:DWORD dst_unused:UNUSED_PAD src0_sel:DWORD src1_sel:WORD_1
	;; [unrolled: 1-line block ×8, first 2 shown]
	v_fma_f16 v10, v26, v51, -v10
	v_fma_f16 v11, v28, v51, -v11
	;; [unrolled: 1-line block ×8, first 2 shown]
	v_sub_f16_e32 v10, v37, v10
	v_sub_f16_e32 v60, v38, v11
	;; [unrolled: 1-line block ×8, first 2 shown]
	v_fma_f16 v37, v37, 2.0, -v10
	v_fma_f16 v38, v38, 2.0, -v60
	;; [unrolled: 1-line block ×7, first 2 shown]
	ds_write_b16 v56, v10 offset:16
	ds_write_b16 v56, v37
	ds_write_b16 v55, v38
	ds_write_b16 v55, v60 offset:16
	ds_write_b16 v54, v39
	ds_write_b16 v54, v12 offset:16
	ds_write_b16 v53, v40
	ds_write_b16 v53, v14 offset:16
	ds_write_b16 v52, v41
	ds_write_b16 v52, v15 offset:16
	ds_write_b16 v16, v42
	ds_write_b16 v16, v57 offset:16
	ds_write_b16 v13, v44
	ds_write_b16 v13, v58 offset:16
	s_and_saveexec_b64 s[4:5], vcc
	s_cbranch_execz .LBB0_41
; %bb.40:
	s_movk_i32 s6, 0x6f0
	v_and_or_b32 v12, v17, s6, v21
	v_fma_f16 v10, v20, 2.0, -v11
	v_lshl_add_u32 v12, v12, 1, 0
	ds_write_b16 v12, v10
	ds_write_b16 v12, v11 offset:16
.LBB0_41:
	s_or_b64 exec, exec, s[4:5]
	v_mul_f16_sdwa v10, v26, v51 dst_sel:DWORD dst_unused:UNUSED_PAD src0_sel:DWORD src1_sel:WORD_1
	v_mul_f16_sdwa v12, v28, v51 dst_sel:DWORD dst_unused:UNUSED_PAD src0_sel:DWORD src1_sel:WORD_1
	;; [unrolled: 1-line block ×3, first 2 shown]
	v_fma_f16 v10, v48, v51, v10
	v_fma_f16 v12, v50, v51, v12
	;; [unrolled: 1-line block ×3, first 2 shown]
	v_mul_f16_sdwa v15, v25, v51 dst_sel:DWORD dst_unused:UNUSED_PAD src0_sel:DWORD src1_sel:WORD_1
	v_mul_f16_sdwa v20, v24, v51 dst_sel:DWORD dst_unused:UNUSED_PAD src0_sel:DWORD src1_sel:WORD_1
	v_mul_f16_sdwa v23, v23, v51 dst_sel:DWORD dst_unused:UNUSED_PAD src0_sel:DWORD src1_sel:WORD_1
	v_mul_f16_sdwa v22, v22, v51 dst_sel:DWORD dst_unused:UNUSED_PAD src0_sel:DWORD src1_sel:WORD_1
	v_fma_f16 v15, v47, v51, v15
	v_fma_f16 v20, v46, v51, v20
	;; [unrolled: 1-line block ×4, first 2 shown]
	v_mul_f16_sdwa v19, v19, v51 dst_sel:DWORD dst_unused:UNUSED_PAD src0_sel:DWORD src1_sel:WORD_1
	v_sub_f16_e32 v37, v30, v10
	v_sub_f16_e32 v39, v31, v12
	;; [unrolled: 1-line block ×3, first 2 shown]
	v_fma_f16 v19, v29, v51, v19
	v_fma_f16 v38, v30, 2.0, -v37
	v_fma_f16 v40, v31, 2.0, -v39
	;; [unrolled: 1-line block ×3, first 2 shown]
	v_sub_f16_e32 v43, v33, v15
	v_sub_f16_e32 v44, v34, v20
	;; [unrolled: 1-line block ×4, first 2 shown]
	s_waitcnt lgkmcnt(0)
	s_barrier
	ds_read_u16 v24, v0 offset:1344
	ds_read_u16 v23, v0 offset:1568
	ds_read_u16 v22, v0
	ds_read_u16 v20, v0 offset:224
	ds_read_u16 v15, v0 offset:448
	;; [unrolled: 1-line block ×12, first 2 shown]
	v_sub_f16_e32 v12, v18, v19
	v_fma_f16 v33, v33, 2.0, -v43
	v_fma_f16 v34, v34, 2.0, -v44
	;; [unrolled: 1-line block ×4, first 2 shown]
	s_waitcnt lgkmcnt(0)
	s_barrier
	ds_write_b16 v56, v38
	ds_write_b16 v56, v37 offset:16
	ds_write_b16 v55, v40
	ds_write_b16 v55, v39 offset:16
	;; [unrolled: 2-line block ×7, first 2 shown]
	s_and_saveexec_b64 s[4:5], vcc
	s_cbranch_execz .LBB0_43
; %bb.42:
	s_movk_i32 s6, 0x6f0
	v_and_or_b32 v16, v17, s6, v21
	v_fma_f16 v13, v18, 2.0, -v12
	v_lshl_add_u32 v16, v16, 1, 0
	ds_write_b16 v16, v13
	ds_write_b16 v16, v12 offset:16
.LBB0_43:
	s_or_b64 exec, exec, s[4:5]
	v_and_b32_e32 v21, 15, v7
	v_lshlrev_b32_e32 v13, 3, v21
	s_waitcnt lgkmcnt(0)
	s_barrier
	global_load_dwordx2 v[34:35], v13, s[12:13] offset:56
	ds_read_u16 v33, v0 offset:1344
	ds_read_u16 v36, v0 offset:1568
	ds_read_u16 v19, v0
	ds_read_u16 v18, v0 offset:224
	ds_read_u16 v17, v0 offset:448
	;; [unrolled: 1-line block ×12, first 2 shown]
	s_movk_i32 s6, 0x3aee
	s_mov_b32 s7, 0xbaee
	s_waitcnt vmcnt(0) lgkmcnt(0)
	s_barrier
	v_lshrrev_b32_e32 v9, 4, v9
	v_lshrrev_b32_e32 v6, 4, v6
	v_mul_u32_u24_e32 v9, 48, v9
	v_mul_u32_u24_e32 v6, 48, v6
	v_or_b32_e32 v9, v9, v21
	v_or_b32_e32 v6, v6, v21
	v_lshl_add_u32 v9, v9, 1, 0
	v_cmp_gt_u32_e32 vcc, 16, v7
	v_mul_f16_sdwa v44, v38, v34 dst_sel:DWORD dst_unused:UNUSED_PAD src0_sel:DWORD src1_sel:WORD_1
	v_mul_f16_sdwa v45, v31, v34 dst_sel:DWORD dst_unused:UNUSED_PAD src0_sel:DWORD src1_sel:WORD_1
	;; [unrolled: 1-line block ×19, first 2 shown]
	v_fma_f16 v51, v31, v34, -v44
	v_fma_f16 v55, v38, v34, v45
	v_fma_f16 v53, v32, v35, -v46
	v_fma_f16 v56, v42, v35, v47
	;; [unrolled: 2-line block ×4, first 2 shown]
	v_fma_f16 v42, v23, v34, -v58
	v_fma_f16 v45, v29, v35, -v60
	;; [unrolled: 1-line block ×4, first 2 shown]
	v_mul_f16_sdwa v67, v28, v34 dst_sel:DWORD dst_unused:UNUSED_PAD src0_sel:DWORD src1_sel:WORD_1
	v_fma_f16 v48, v36, v34, v59
	v_fma_f16 v50, v40, v35, v61
	;; [unrolled: 1-line block ×4, first 2 shown]
	v_fma_f16 v24, v28, v34, -v66
	v_fma_f16 v27, v26, v35, -v68
	v_fma_f16 v41, v43, v35, v69
	v_add_f16_e32 v25, v51, v53
	v_add_f16_e32 v29, v47, v49
	;; [unrolled: 1-line block ×5, first 2 shown]
	v_fma_f16 v37, v57, v34, v67
	v_add_f16_e32 v23, v22, v51
	v_sub_f16_e32 v26, v55, v56
	v_add_f16_e32 v28, v20, v47
	v_sub_f16_e32 v30, v52, v54
	;; [unrolled: 2-line block ×3, first 2 shown]
	v_fma_f16 v22, v25, -0.5, v22
	v_fma_f16 v20, v29, -0.5, v20
	;; [unrolled: 1-line block ×3, first 2 shown]
	v_add_f16_e32 v29, v35, v39
	v_fma_f16 v14, v36, -0.5, v14
	v_sub_f16_e32 v32, v44, v46
	v_add_f16_e32 v35, v24, v27
	v_add_f16_e32 v25, v28, v49
	;; [unrolled: 1-line block ×3, first 2 shown]
	v_fma_f16 v31, v26, s6, v22
	v_fma_f16 v22, v26, s7, v22
	;; [unrolled: 1-line block ×8, first 2 shown]
	v_add_f16_e32 v32, v10, v24
	v_fma_f16 v10, v35, -0.5, v10
	v_sub_f16_e32 v35, v37, v41
	v_fma_f16 v36, v35, s6, v10
	v_fma_f16 v10, v35, s7, v10
	v_lshrrev_b32_e32 v35, 4, v7
	v_mul_u32_u24_e32 v35, 48, v35
	v_or_b32_e32 v35, v35, v21
	v_add_f16_e32 v23, v23, v53
	v_lshl_add_u32 v57, v35, 1, 0
	ds_write_b16 v57, v23
	ds_write_b16 v57, v31 offset:32
	ds_write_b16 v57, v22 offset:64
	v_lshrrev_b32_e32 v22, 4, v8
	v_mul_u32_u24_e32 v22, 48, v22
	v_or_b32_e32 v22, v22, v21
	v_lshl_add_u32 v58, v22, 1, 0
	ds_write_b16 v58, v25
	ds_write_b16 v58, v26 offset:32
	ds_write_b16 v58, v20 offset:64
	v_lshrrev_b32_e32 v20, 4, v5
	v_mul_u32_u24_e32 v20, 48, v20
	v_or_b32_e32 v20, v20, v21
	v_add_f16_e32 v32, v32, v27
	v_lshl_add_u32 v59, v20, 1, 0
	v_lshl_add_u32 v60, v6, 1, 0
	ds_write_b16 v59, v28
	ds_write_b16 v59, v30 offset:32
	ds_write_b16 v59, v15 offset:64
	ds_write_b16 v9, v29
	ds_write_b16 v9, v34 offset:32
	ds_write_b16 v9, v14 offset:64
	;; [unrolled: 3-line block ×3, first 2 shown]
	s_waitcnt lgkmcnt(0)
	s_barrier
	ds_read_u16 v15, v0
	ds_read_u16 v23, v0 offset:1920
	ds_read_u16 v31, v0 offset:1664
	ds_read_u16 v21, v0 offset:1440
	ds_read_u16 v35, v0 offset:1184
	ds_read_u16 v20, v0 offset:960
	ds_read_u16 v36, v0 offset:704
	ds_read_u16 v22, v0 offset:480
	ds_read_u16 v14, v0 offset:224
	ds_read_u16 v30, v0 offset:3104
	ds_read_u16 v28, v0 offset:2880
	ds_read_u16 v32, v0 offset:2624
	ds_read_u16 v25, v0 offset:2400
	ds_read_u16 v40, v0 offset:2144
                                        ; implicit-def: $vgpr34
                                        ; implicit-def: $vgpr43
                                        ; implicit-def: $vgpr26
                                        ; implicit-def: $vgpr29
                                        ; implicit-def: $vgpr38
	s_and_saveexec_b64 s[4:5], vcc
	s_cbranch_execz .LBB0_45
; %bb.44:
	ds_read_u16 v10, v0 offset:448
	ds_read_u16 v11, v0 offset:928
	ds_read_u16 v34, v0 offset:1408
	ds_read_u16 v38, v0 offset:1888
	ds_read_u16 v43, v0 offset:2368
	ds_read_u16 v29, v0 offset:2848
	ds_read_u16 v26, v0 offset:3328
.LBB0_45:
	s_or_b64 exec, exec, s[4:5]
	v_add_f16_e32 v6, v19, v55
	v_add_f16_e32 v61, v6, v56
	v_add_f16_e32 v6, v55, v56
	v_fma_f16 v6, v6, -0.5, v19
	v_sub_f16_e32 v19, v51, v53
	v_fma_f16 v51, v19, s7, v6
	v_fma_f16 v19, v19, s6, v6
	v_add_f16_e32 v6, v18, v52
	v_add_f16_e32 v53, v6, v54
	v_add_f16_e32 v6, v52, v54
	v_fma_f16 v6, v6, -0.5, v18
	v_sub_f16_e32 v18, v47, v49
	v_fma_f16 v47, v18, s7, v6
	v_fma_f16 v18, v18, s6, v6
	;; [unrolled: 7-line block ×5, first 2 shown]
	s_waitcnt lgkmcnt(0)
	s_barrier
	ds_write_b16 v57, v61
	ds_write_b16 v57, v51 offset:32
	ds_write_b16 v57, v19 offset:64
	ds_write_b16 v58, v53
	ds_write_b16 v58, v47 offset:32
	ds_write_b16 v58, v18 offset:64
	;; [unrolled: 3-line block ×5, first 2 shown]
	s_waitcnt lgkmcnt(0)
	s_barrier
	ds_read_u16 v13, v0
	ds_read_u16 v24, v0 offset:1920
	ds_read_u16 v42, v0 offset:1664
	;; [unrolled: 1-line block ×13, first 2 shown]
                                        ; implicit-def: $vgpr53
                                        ; implicit-def: $vgpr52
                                        ; implicit-def: $vgpr50
                                        ; implicit-def: $vgpr51
                                        ; implicit-def: $vgpr54
	s_and_saveexec_b64 s[4:5], vcc
	s_cbranch_execz .LBB0_47
; %bb.46:
	ds_read_u16 v6, v0 offset:448
	ds_read_u16 v12, v0 offset:928
	ds_read_u16 v53, v0 offset:1408
	ds_read_u16 v54, v0 offset:1888
	ds_read_u16 v52, v0 offset:2368
	ds_read_u16 v51, v0 offset:2848
	ds_read_u16 v50, v0 offset:3328
.LBB0_47:
	s_or_b64 exec, exec, s[4:5]
	s_movk_i32 s4, 0xab
	v_mul_lo_u16_sdwa v16, v7, s4 dst_sel:DWORD dst_unused:UNUSED_PAD src0_sel:BYTE_0 src1_sel:DWORD
	v_lshrrev_b16_e32 v59, 13, v16
	v_mul_lo_u16_e32 v16, 48, v59
	v_sub_u16_e32 v60, v7, v16
	v_mov_b32_e32 v44, 6
	v_mul_u32_u24_sdwa v16, v60, v44 dst_sel:DWORD dst_unused:UNUSED_PAD src0_sel:BYTE_0 src1_sel:DWORD
	v_lshlrev_b32_e32 v46, 2, v16
	global_load_dwordx4 v[55:58], v46, s[12:13] offset:184
	s_movk_i32 s7, 0x2b26
	s_movk_i32 s6, 0x3b00
	s_mov_b32 s8, 0xbcab
	s_movk_i32 s9, 0x39e0
	s_mov_b32 s14, 0xb9e0
	;; [unrolled: 2-line block ×3, first 2 shown]
	s_movk_i32 s16, 0x370e
	s_waitcnt vmcnt(0)
	v_mul_f16_sdwa v18, v22, v55 dst_sel:DWORD dst_unused:UNUSED_PAD src0_sel:DWORD src1_sel:WORD_1
	s_waitcnt lgkmcnt(6)
	v_mul_f16_sdwa v16, v17, v55 dst_sel:DWORD dst_unused:UNUSED_PAD src0_sel:DWORD src1_sel:WORD_1
	v_fma_f16 v18, v17, v55, v18
	v_mul_f16_sdwa v17, v19, v56 dst_sel:DWORD dst_unused:UNUSED_PAD src0_sel:DWORD src1_sel:WORD_1
	v_fma_f16 v17, v20, v56, -v17
	v_mul_f16_sdwa v20, v20, v56 dst_sel:DWORD dst_unused:UNUSED_PAD src0_sel:DWORD src1_sel:WORD_1
	v_fma_f16 v16, v22, v55, -v16
	v_fma_f16 v20, v19, v56, v20
	global_load_dwordx2 v[55:56], v46, s[12:13] offset:200
	v_mul_f16_sdwa v19, v27, v57 dst_sel:DWORD dst_unused:UNUSED_PAD src0_sel:DWORD src1_sel:WORD_1
	v_fma_f16 v19, v21, v57, -v19
	v_mul_f16_sdwa v21, v21, v57 dst_sel:DWORD dst_unused:UNUSED_PAD src0_sel:DWORD src1_sel:WORD_1
	v_fma_f16 v21, v27, v57, v21
	v_mul_f16_sdwa v22, v24, v58 dst_sel:DWORD dst_unused:UNUSED_PAD src0_sel:DWORD src1_sel:WORD_1
	v_fma_f16 v22, v23, v58, -v22
	v_mul_f16_sdwa v23, v23, v58 dst_sel:DWORD dst_unused:UNUSED_PAD src0_sel:DWORD src1_sel:WORD_1
	v_fma_f16 v23, v24, v58, v23
	s_waitcnt vmcnt(0) lgkmcnt(3)
	v_mul_f16_sdwa v27, v33, v56 dst_sel:DWORD dst_unused:UNUSED_PAD src0_sel:DWORD src1_sel:WORD_1
	v_fma_f16 v27, v28, v56, -v27
	v_mul_f16_sdwa v28, v28, v56 dst_sel:DWORD dst_unused:UNUSED_PAD src0_sel:DWORD src1_sel:WORD_1
	v_fma_f16 v28, v33, v56, v28
	v_mul_lo_u16_sdwa v33, v8, s4 dst_sel:DWORD dst_unused:UNUSED_PAD src0_sel:BYTE_0 src1_sel:DWORD
	v_lshrrev_b16_e32 v61, 13, v33
	v_mul_lo_u16_e32 v33, 48, v61
	v_sub_u16_e32 v62, v8, v33
	s_waitcnt lgkmcnt(1)
	v_mul_f16_sdwa v24, v41, v55 dst_sel:DWORD dst_unused:UNUSED_PAD src0_sel:DWORD src1_sel:WORD_1
	v_mul_u32_u24_sdwa v33, v62, v44 dst_sel:DWORD dst_unused:UNUSED_PAD src0_sel:BYTE_0 src1_sel:DWORD
	v_fma_f16 v24, v25, v55, -v24
	v_mul_f16_sdwa v25, v25, v55 dst_sel:DWORD dst_unused:UNUSED_PAD src0_sel:DWORD src1_sel:WORD_1
	v_lshlrev_b32_e32 v46, 2, v33
	v_fma_f16 v25, v41, v55, v25
	global_load_dwordx4 v[55:58], v46, s[12:13] offset:184
	s_mov_b32 s4, 0xaaab
	s_waitcnt vmcnt(0)
	v_mul_f16_sdwa v33, v37, v55 dst_sel:DWORD dst_unused:UNUSED_PAD src0_sel:DWORD src1_sel:WORD_1
	v_fma_f16 v33, v36, v55, -v33
	v_mul_f16_sdwa v36, v36, v55 dst_sel:DWORD dst_unused:UNUSED_PAD src0_sel:DWORD src1_sel:WORD_1
	v_fma_f16 v37, v37, v55, v36
	v_mul_f16_sdwa v36, v39, v56 dst_sel:DWORD dst_unused:UNUSED_PAD src0_sel:DWORD src1_sel:WORD_1
	v_fma_f16 v36, v35, v56, -v36
	v_mul_f16_sdwa v35, v35, v56 dst_sel:DWORD dst_unused:UNUSED_PAD src0_sel:DWORD src1_sel:WORD_1
	v_fma_f16 v41, v39, v56, v35
	global_load_dwordx2 v[55:56], v46, s[12:13] offset:200
	v_mul_f16_sdwa v35, v42, v57 dst_sel:DWORD dst_unused:UNUSED_PAD src0_sel:DWORD src1_sel:WORD_1
	v_fma_f16 v39, v31, v57, -v35
	v_mul_f16_sdwa v31, v31, v57 dst_sel:DWORD dst_unused:UNUSED_PAD src0_sel:DWORD src1_sel:WORD_1
	v_fma_f16 v42, v42, v57, v31
	s_waitcnt lgkmcnt(0)
	v_mul_f16_sdwa v31, v45, v58 dst_sel:DWORD dst_unused:UNUSED_PAD src0_sel:DWORD src1_sel:WORD_1
	v_fma_f16 v44, v40, v58, -v31
	v_mul_f16_sdwa v31, v40, v58 dst_sel:DWORD dst_unused:UNUSED_PAD src0_sel:DWORD src1_sel:WORD_1
	v_fma_f16 v45, v45, v58, v31
	v_add_f16_e32 v65, v39, v44
	v_sub_f16_e32 v66, v45, v42
	s_waitcnt vmcnt(0)
	v_mul_f16_sdwa v31, v47, v55 dst_sel:DWORD dst_unused:UNUSED_PAD src0_sel:DWORD src1_sel:WORD_1
	v_fma_f16 v46, v32, v55, -v31
	v_mul_f16_sdwa v31, v32, v55 dst_sel:DWORD dst_unused:UNUSED_PAD src0_sel:DWORD src1_sel:WORD_1
	v_fma_f16 v47, v47, v55, v31
	v_mul_f16_sdwa v31, v49, v56 dst_sel:DWORD dst_unused:UNUSED_PAD src0_sel:DWORD src1_sel:WORD_1
	v_fma_f16 v48, v30, v56, -v31
	v_mul_f16_sdwa v30, v30, v56 dst_sel:DWORD dst_unused:UNUSED_PAD src0_sel:DWORD src1_sel:WORD_1
	v_fma_f16 v49, v49, v56, v30
	v_mul_u32_u24_sdwa v30, v5, s4 dst_sel:DWORD dst_unused:UNUSED_PAD src0_sel:WORD_0 src1_sel:DWORD
	v_lshrrev_b32_e32 v30, 21, v30
	v_mul_lo_u16_e32 v30, 48, v30
	v_sub_u16_e32 v63, v5, v30
	v_mul_u32_u24_e32 v30, 6, v63
	v_lshlrev_b32_e32 v64, 2, v30
	global_load_dwordx4 v[55:58], v64, s[12:13] offset:184
	s_waitcnt vmcnt(0)
	v_mul_f16_sdwa v30, v12, v55 dst_sel:DWORD dst_unused:UNUSED_PAD src0_sel:DWORD src1_sel:WORD_1
	v_fma_f16 v30, v11, v55, -v30
	v_mul_f16_sdwa v11, v11, v55 dst_sel:DWORD dst_unused:UNUSED_PAD src0_sel:DWORD src1_sel:WORD_1
	v_fma_f16 v32, v12, v55, v11
	v_mul_f16_sdwa v11, v53, v56 dst_sel:DWORD dst_unused:UNUSED_PAD src0_sel:DWORD src1_sel:WORD_1
	v_fma_f16 v31, v34, v56, -v11
	v_mul_f16_sdwa v11, v34, v56 dst_sel:DWORD dst_unused:UNUSED_PAD src0_sel:DWORD src1_sel:WORD_1
	v_fma_f16 v35, v53, v56, v11
	;; [unrolled: 4-line block ×4, first 2 shown]
	global_load_dwordx2 v[11:12], v64, s[12:13] offset:200
	v_sub_f16_e32 v53, v20, v25
	v_add_f16_e32 v54, v19, v22
	v_sub_f16_e32 v55, v23, v21
	v_add_f16_e32 v58, v55, v53
	v_sub_f16_e32 v64, v55, v53
	s_waitcnt vmcnt(0)
	s_barrier
	v_mul_f16_sdwa v52, v51, v11 dst_sel:DWORD dst_unused:UNUSED_PAD src0_sel:DWORD src1_sel:WORD_1
	v_fma_f16 v52, v29, v11, -v52
	v_mul_f16_sdwa v29, v29, v11 dst_sel:DWORD dst_unused:UNUSED_PAD src0_sel:DWORD src1_sel:WORD_1
	v_fma_f16 v29, v51, v11, v29
	v_mul_f16_sdwa v11, v50, v12 dst_sel:DWORD dst_unused:UNUSED_PAD src0_sel:DWORD src1_sel:WORD_1
	v_fma_f16 v51, v26, v12, -v11
	v_mul_f16_sdwa v11, v26, v12 dst_sel:DWORD dst_unused:UNUSED_PAD src0_sel:DWORD src1_sel:WORD_1
	v_fma_f16 v26, v50, v12, v11
	v_add_f16_e32 v11, v16, v27
	v_add_f16_e32 v50, v17, v24
	v_sub_f16_e32 v12, v18, v28
	v_add_f16_e32 v56, v50, v11
	v_sub_f16_e32 v57, v50, v11
	v_sub_f16_e32 v11, v11, v54
	;; [unrolled: 1-line block ×4, first 2 shown]
	v_add_f16_e32 v54, v54, v56
	v_sub_f16_e32 v55, v12, v55
	v_add_f16_e32 v12, v58, v12
	v_add_f16_e32 v15, v15, v54
	v_mul_f16_e32 v11, 0x3a52, v11
	v_mul_f16_e32 v56, 0x2b26, v50
	;; [unrolled: 1-line block ×4, first 2 shown]
	v_fma_f16 v54, v54, s8, v15
	v_fma_f16 v50, v50, s7, v11
	v_fma_f16 v56, v57, s9, -v56
	v_fma_f16 v11, v57, s14, -v11
	v_fma_f16 v57, v55, s15, v58
	v_fma_f16 v53, v53, s6, -v58
	v_fma_f16 v55, v55, s17, -v64
	v_add_f16_e32 v50, v50, v54
	v_add_f16_e32 v56, v56, v54
	v_add_f16_e32 v11, v11, v54
	v_fma_f16 v54, v12, s16, v57
	v_fma_f16 v53, v12, s16, v53
	;; [unrolled: 1-line block ×3, first 2 shown]
	v_add_f16_e32 v55, v54, v50
	v_add_f16_e32 v57, v12, v11
	v_sub_f16_e32 v11, v11, v12
	v_sub_f16_e32 v12, v50, v54
	v_add_f16_e32 v50, v33, v48
	v_add_f16_e32 v54, v36, v46
	v_sub_f16_e32 v64, v41, v47
	v_add_f16_e32 v67, v54, v50
	v_sub_f16_e32 v58, v56, v53
	;; [unrolled: 2-line block ×3, first 2 shown]
	v_sub_f16_e32 v68, v54, v50
	v_sub_f16_e32 v50, v50, v65
	;; [unrolled: 1-line block ×3, first 2 shown]
	v_add_f16_e32 v69, v66, v64
	v_sub_f16_e32 v70, v66, v64
	v_add_f16_e32 v65, v65, v67
	v_sub_f16_e32 v66, v53, v66
	v_sub_f16_e32 v64, v64, v53
	v_add_f16_e32 v53, v69, v53
	v_add_f16_e32 v14, v14, v65
	v_mul_f16_e32 v50, 0x3a52, v50
	v_mul_f16_e32 v67, 0x2b26, v54
	;; [unrolled: 1-line block ×4, first 2 shown]
	v_fma_f16 v65, v65, s8, v14
	v_fma_f16 v54, v54, s7, v50
	v_fma_f16 v67, v68, s9, -v67
	v_fma_f16 v50, v68, s14, -v50
	v_fma_f16 v68, v66, s15, v69
	v_fma_f16 v64, v64, s6, -v69
	v_fma_f16 v66, v66, s17, -v70
	v_add_f16_e32 v54, v54, v65
	v_add_f16_e32 v67, v67, v65
	;; [unrolled: 1-line block ×3, first 2 shown]
	v_fma_f16 v65, v53, s16, v68
	v_fma_f16 v64, v53, s16, v64
	;; [unrolled: 1-line block ×3, first 2 shown]
	v_add_f16_e32 v66, v65, v54
	v_sub_f16_e32 v65, v54, v65
	v_mov_b32_e32 v54, 1
	v_add_f16_e32 v68, v53, v50
	v_sub_f16_e32 v50, v50, v53
	v_mul_u32_u24_e32 v53, 0x2a0, v59
	v_lshlrev_b32_sdwa v59, v54, v60 dst_sel:DWORD dst_unused:UNUSED_PAD src0_sel:DWORD src1_sel:BYTE_0
	v_add3_u32 v53, 0, v53, v59
	ds_write_b16 v53, v15
	ds_write_b16 v53, v55 offset:96
	ds_write_b16 v53, v57 offset:192
	;; [unrolled: 1-line block ×6, first 2 shown]
	v_mul_u32_u24_e32 v11, 0x2a0, v61
	v_lshlrev_b32_sdwa v12, v54, v62 dst_sel:DWORD dst_unused:UNUSED_PAD src0_sel:DWORD src1_sel:BYTE_0
	v_add3_u32 v54, 0, v11, v12
	v_sub_f16_e32 v69, v67, v64
	v_add_f16_e32 v64, v64, v67
	ds_write_b16 v54, v14
	ds_write_b16 v54, v66 offset:96
	ds_write_b16 v54, v68 offset:192
	;; [unrolled: 1-line block ×6, first 2 shown]
	v_lshl_add_u32 v50, v63, 1, 0
	s_and_saveexec_b64 s[4:5], vcc
	s_cbranch_execz .LBB0_49
; %bb.48:
	v_add_f16_e32 v11, v30, v51
	v_add_f16_e32 v15, v31, v52
	;; [unrolled: 1-line block ×4, first 2 shown]
	v_sub_f16_e32 v14, v11, v12
	v_sub_f16_e32 v55, v12, v15
	v_add_f16_e32 v12, v12, v57
	v_sub_f16_e32 v57, v32, v26
	v_sub_f16_e32 v58, v43, v38
	;; [unrolled: 1-line block ×5, first 2 shown]
	v_add_f16_e32 v58, v58, v60
	v_sub_f16_e32 v11, v15, v11
	v_sub_f16_e32 v15, v60, v57
	v_mul_f16_e32 v14, 0x3a52, v14
	v_mul_f16_e32 v56, 0x2b26, v55
	v_add_f16_e32 v10, v10, v12
	v_mul_f16_e32 v61, 0xb846, v61
	v_add_f16_e32 v58, v58, v57
	v_mul_f16_e32 v57, 0x3b00, v15
	v_fma_f16 v55, v55, s7, v14
	v_fma_f16 v12, v12, s8, v10
	;; [unrolled: 1-line block ×3, first 2 shown]
	v_fma_f16 v14, v11, s14, -v14
	v_fma_f16 v57, v59, s17, -v57
	;; [unrolled: 1-line block ×4, first 2 shown]
	v_add_f16_e32 v55, v55, v12
	v_fma_f16 v62, v58, s16, v62
	v_add_f16_e32 v14, v14, v12
	v_fma_f16 v57, v58, s16, v57
	v_fma_f16 v15, v58, s16, v15
	v_add_f16_e32 v11, v11, v12
	v_sub_f16_e32 v63, v55, v62
	v_sub_f16_e32 v59, v14, v57
	v_add_f16_e32 v12, v15, v11
	v_sub_f16_e32 v11, v11, v15
	v_add_f16_e32 v14, v57, v14
	v_add_f16_e32 v15, v62, v55
	ds_write_b16 v50, v10 offset:2688
	ds_write_b16 v50, v15 offset:2784
	;; [unrolled: 1-line block ×7, first 2 shown]
.LBB0_49:
	s_or_b64 exec, exec, s[4:5]
	v_add_f16_e32 v10, v18, v28
	v_add_f16_e32 v12, v20, v25
	v_sub_f16_e32 v11, v16, v27
	v_sub_f16_e32 v14, v17, v24
	v_add_f16_e32 v15, v21, v23
	v_sub_f16_e32 v16, v22, v19
	v_add_f16_e32 v17, v12, v10
	v_sub_f16_e32 v18, v12, v10
	v_sub_f16_e32 v10, v10, v15
	;; [unrolled: 1-line block ×3, first 2 shown]
	v_add_f16_e32 v19, v16, v14
	v_sub_f16_e32 v20, v16, v14
	v_sub_f16_e32 v14, v14, v11
	v_add_f16_e32 v15, v15, v17
	v_sub_f16_e32 v16, v11, v16
	v_add_f16_e32 v11, v19, v11
	v_add_f16_e32 v24, v13, v15
	v_mul_f16_e32 v10, 0x3a52, v10
	v_mul_f16_e32 v13, 0x2b26, v12
	;; [unrolled: 1-line block ×4, first 2 shown]
	v_fma_f16 v15, v15, s8, v24
	v_fma_f16 v12, v12, s7, v10
	v_fma_f16 v13, v18, s9, -v13
	v_fma_f16 v10, v18, s14, -v10
	v_fma_f16 v18, v16, s15, v17
	v_fma_f16 v14, v14, s6, -v17
	v_fma_f16 v16, v16, s17, -v19
	v_add_f16_e32 v12, v12, v15
	v_add_f16_e32 v13, v13, v15
	;; [unrolled: 1-line block ×3, first 2 shown]
	v_fma_f16 v15, v11, s16, v18
	v_fma_f16 v14, v11, s16, v14
	;; [unrolled: 1-line block ×3, first 2 shown]
	v_sub_f16_e32 v25, v12, v15
	v_sub_f16_e32 v27, v10, v11
	v_add_f16_e32 v56, v11, v10
	v_add_f16_e32 v57, v15, v12
	;; [unrolled: 1-line block ×5, first 2 shown]
	v_sub_f16_e32 v55, v13, v14
	v_sub_f16_e32 v11, v33, v48
	;; [unrolled: 1-line block ×3, first 2 shown]
	v_add_f16_e32 v14, v42, v45
	v_sub_f16_e32 v15, v44, v39
	v_add_f16_e32 v16, v12, v10
	v_sub_f16_e32 v17, v12, v10
	v_sub_f16_e32 v10, v10, v14
	;; [unrolled: 1-line block ×3, first 2 shown]
	v_add_f16_e32 v18, v15, v13
	v_sub_f16_e32 v19, v15, v13
	v_sub_f16_e32 v13, v13, v11
	v_add_f16_e32 v14, v14, v16
	v_sub_f16_e32 v15, v11, v15
	v_add_f16_e32 v11, v18, v11
	v_add_f16_e32 v33, v9, v14
	v_mul_f16_e32 v9, 0x3a52, v10
	v_mul_f16_e32 v10, 0x2b26, v12
	;; [unrolled: 1-line block ×4, first 2 shown]
	v_fma_f16 v14, v14, s8, v33
	v_fma_f16 v12, v12, s7, v9
	v_fma_f16 v10, v17, s9, -v10
	v_fma_f16 v9, v17, s14, -v9
	v_fma_f16 v17, v15, s15, v16
	v_fma_f16 v13, v13, s6, -v16
	v_fma_f16 v15, v15, s17, -v18
	v_add_f16_e32 v12, v12, v14
	v_add_f16_e32 v10, v10, v14
	;; [unrolled: 1-line block ×3, first 2 shown]
	v_fma_f16 v14, v11, s16, v17
	v_fma_f16 v13, v11, s16, v13
	;; [unrolled: 1-line block ×3, first 2 shown]
	v_sub_f16_e32 v36, v12, v14
	v_sub_f16_e32 v37, v9, v11
	v_add_f16_e32 v39, v13, v10
	v_sub_f16_e32 v41, v10, v13
	v_add_f16_e32 v42, v11, v9
	v_add_f16_e32 v44, v14, v12
	s_waitcnt lgkmcnt(0)
	s_barrier
	ds_read_u16 v9, v0
	ds_read_u16 v14, v0 offset:224
	ds_read_u16 v15, v0 offset:896
	;; [unrolled: 1-line block ×14, first 2 shown]
	s_waitcnt lgkmcnt(0)
	s_barrier
	ds_write_b16 v53, v24
	ds_write_b16 v53, v25 offset:96
	ds_write_b16 v53, v27 offset:192
	;; [unrolled: 1-line block ×6, first 2 shown]
	ds_write_b16 v54, v33
	ds_write_b16 v54, v36 offset:96
	ds_write_b16 v54, v37 offset:192
	;; [unrolled: 1-line block ×6, first 2 shown]
	s_and_saveexec_b64 s[4:5], vcc
	s_cbranch_execz .LBB0_51
; %bb.50:
	v_add_f16_e32 v24, v32, v26
	v_add_f16_e32 v26, v35, v29
	;; [unrolled: 1-line block ×3, first 2 shown]
	v_sub_f16_e32 v25, v30, v51
	v_sub_f16_e32 v27, v31, v52
	v_add_f16_e32 v30, v26, v24
	v_sub_f16_e32 v31, v26, v24
	v_sub_f16_e32 v24, v24, v28
	;; [unrolled: 1-line block ×3, first 2 shown]
	v_mul_f16_e32 v24, 0x3a52, v24
	s_movk_i32 s6, 0x2b26
	v_sub_f16_e32 v29, v40, v34
	v_add_f16_e32 v28, v28, v30
	v_mul_f16_e32 v30, 0x2b26, v26
	v_fma_f16 v26, v26, s6, v24
	s_movk_i32 s6, 0x39e0
	v_add_f16_e32 v32, v29, v27
	v_sub_f16_e32 v33, v29, v27
	v_fma_f16 v30, v31, s6, -v30
	s_mov_b32 s6, 0xb9e0
	v_sub_f16_e32 v29, v25, v29
	v_sub_f16_e32 v27, v27, v25
	v_add_f16_e32 v25, v32, v25
	v_mul_f16_e32 v32, 0xb846, v33
	v_fma_f16 v24, v31, s6, -v24
	s_movk_i32 s6, 0x3574
	v_add_f16_e32 v6, v6, v28
	s_movk_i32 s7, 0x3b00
	v_mul_f16_e32 v33, 0x3b00, v27
	v_fma_f16 v31, v29, s6, v32
	s_mov_b32 s6, 0xb574
	v_fma_f16 v28, v28, s8, v6
	v_fma_f16 v27, v27, s7, -v32
	v_fma_f16 v29, v29, s6, -v33
	s_movk_i32 s6, 0x370e
	v_add_f16_e32 v26, v26, v28
	v_add_f16_e32 v30, v30, v28
	v_add_f16_e32 v24, v24, v28
	v_fma_f16 v28, v25, s6, v31
	v_fma_f16 v27, v25, s6, v27
	;; [unrolled: 1-line block ×3, first 2 shown]
	v_sub_f16_e32 v29, v26, v28
	v_sub_f16_e32 v31, v24, v25
	v_add_f16_e32 v32, v27, v30
	v_sub_f16_e32 v27, v30, v27
	v_add_f16_e32 v24, v25, v24
	v_add_f16_e32 v25, v28, v26
	ds_write_b16 v50, v6 offset:2688
	ds_write_b16 v50, v29 offset:2784
	;; [unrolled: 1-line block ×7, first 2 shown]
.LBB0_51:
	s_or_b64 exec, exec, s[4:5]
	s_waitcnt lgkmcnt(0)
	s_barrier
	s_and_saveexec_b64 s[4:5], s[0:1]
	s_cbranch_execz .LBB0_53
; %bb.52:
	v_lshlrev_b32_e32 v5, 2, v5
	v_mov_b32_e32 v6, 0
	v_lshlrev_b64 v[24:25], 2, v[5:6]
	v_mov_b32_e32 v32, s13
	v_add_co_u32_e32 v24, vcc, s12, v24
	v_addc_co_u32_e32 v25, vcc, v32, v25, vcc
	global_load_dwordx4 v[24:27], v[24:25], off offset:1336
	ds_read_u16 v33, v0 offset:1792
	ds_read_u16 v34, v0 offset:1568
	;; [unrolled: 1-line block ×14, first 2 shown]
	v_lshlrev_b32_e32 v5, 2, v8
	v_lshlrev_b64 v[28:29], 2, v[5:6]
	v_mul_lo_u32 v30, s3, v3
	v_mul_lo_u32 v31, s2, v4
	v_mad_u64_u32 v[3:4], s[0:1], s2, v3, 0
	s_movk_i32 s0, 0x3b9c
	s_mov_b32 s3, 0xbb9c
	s_movk_i32 s1, 0x38b4
	s_mov_b32 s4, 0xb8b4
	s_movk_i32 s2, 0x34f2
	v_add_co_u32_e32 v28, vcc, s12, v28
	v_addc_co_u32_e32 v29, vcc, v32, v29, vcc
	v_add3_u32 v4, v4, v31, v30
	global_load_dwordx4 v[28:31], v[28:29], off offset:1336
	ds_read_u16 v0, v0
	v_lshlrev_b64 v[3:4], 2, v[3:4]
	s_waitcnt vmcnt(1)
	v_lshrrev_b32_e32 v5, 16, v24
	v_lshrrev_b32_e32 v8, 16, v25
	;; [unrolled: 1-line block ×4, first 2 shown]
	s_waitcnt lgkmcnt(11)
	v_mul_f16_e32 v49, v24, v36
	v_mul_f16_e32 v50, v25, v33
	s_waitcnt lgkmcnt(6)
	v_mul_f16_e32 v51, v27, v41
	s_waitcnt lgkmcnt(3)
	v_mul_f16_e32 v52, v26, v44
	v_fma_f16 v49, v20, v5, v49
	v_fma_f16 v50, v23, v8, v50
	;; [unrolled: 1-line block ×4, first 2 shown]
	v_mul_f16_e32 v8, v8, v33
	v_mul_f16_e32 v33, v47, v44
	;; [unrolled: 1-line block ×4, first 2 shown]
	v_sub_f16_e32 v41, v49, v50
	v_sub_f16_e32 v44, v51, v52
	v_fma_f16 v8, v23, v25, -v8
	v_fma_f16 v23, v22, v26, -v33
	;; [unrolled: 1-line block ×4, first 2 shown]
	v_sub_f16_e32 v25, v50, v49
	v_sub_f16_e32 v26, v52, v51
	v_add_f16_e32 v27, v49, v51
	v_add_f16_e32 v33, v41, v44
	v_sub_f16_e32 v36, v8, v23
	v_sub_f16_e32 v44, v5, v8
	;; [unrolled: 1-line block ×3, first 2 shown]
	v_add_f16_e32 v48, v8, v23
	v_add_f16_e32 v25, v25, v26
	v_fma_f16 v26, v27, -0.5, v39
	v_add_f16_e32 v20, v50, v52
	v_sub_f16_e32 v41, v5, v24
	v_add_f16_e32 v54, v5, v24
	v_add_f16_e32 v44, v44, v47
	v_fma_f16 v47, v48, -0.5, v19
	v_fma_f16 v48, v36, s3, v26
	v_fma_f16 v26, v36, s0, v26
	v_sub_f16_e32 v22, v50, v52
	v_fma_f16 v20, v20, -0.5, v39
	v_fma_f16 v48, v41, s1, v48
	v_fma_f16 v54, v54, -0.5, v19
	v_fma_f16 v26, v41, s4, v26
	v_sub_f16_e32 v21, v49, v51
	v_sub_f16_e32 v27, v8, v5
	;; [unrolled: 1-line block ×3, first 2 shown]
	v_fma_f16 v55, v41, s0, v20
	v_fma_f16 v48, v25, s2, v48
	;; [unrolled: 1-line block ×6, first 2 shown]
	v_add_f16_e32 v27, v27, v53
	v_fma_f16 v56, v21, s4, v56
	v_fma_f16 v26, v21, s1, v26
	;; [unrolled: 1-line block ×11, first 2 shown]
	v_add_f16_e32 v20, v49, v39
	v_add_f16_e32 v20, v50, v20
	;; [unrolled: 1-line block ×5, first 2 shown]
	v_lshlrev_b32_e32 v5, 2, v7
	v_add_f16_e32 v36, v51, v20
	v_lshlrev_b64 v[19:20], 2, v[5:6]
	v_fma_f16 v55, v21, s3, v47
	v_add_co_u32_e32 v19, vcc, s12, v19
	v_addc_co_u32_e32 v20, vcc, v32, v20, vcc
	v_fma_f16 v55, v22, s4, v55
	global_load_dwordx4 v[19:22], v[19:20], off offset:1336
	v_add_f16_e32 v5, v8, v23
	v_add_f16_e32 v8, v24, v5
	s_waitcnt vmcnt(1)
	v_lshrrev_b32_e32 v5, 16, v28
	v_lshrrev_b32_e32 v23, 16, v29
	;; [unrolled: 1-line block ×4, first 2 shown]
	v_mul_f16_e32 v39, v28, v37
	v_mul_f16_e32 v41, v29, v34
	;; [unrolled: 1-line block ×3, first 2 shown]
	s_waitcnt lgkmcnt(2)
	v_mul_f16_e32 v49, v30, v45
	v_fma_f16 v39, v15, v5, v39
	v_fma_f16 v41, v17, v23, v41
	;; [unrolled: 1-line block ×4, first 2 shown]
	v_mul_f16_e32 v23, v23, v34
	v_mul_f16_e32 v5, v5, v37
	v_fma_f16 v17, v17, v29, -v23
	v_mul_f16_e32 v23, v24, v45
	v_fma_f16 v5, v15, v28, -v5
	v_mul_f16_e32 v15, v32, v42
	v_sub_f16_e32 v37, v41, v39
	v_sub_f16_e32 v42, v49, v47
	v_fma_f16 v16, v16, v30, -v23
	v_fma_f16 v15, v18, v31, -v15
	v_add_f16_e32 v37, v37, v42
	v_add_f16_e32 v42, v39, v47
	v_fma_f16 v55, v44, s2, v55
	v_sub_f16_e32 v44, v39, v41
	v_sub_f16_e32 v50, v47, v49
	;; [unrolled: 1-line block ×3, first 2 shown]
	v_add_f16_e32 v24, v41, v49
	v_sub_f16_e32 v29, v5, v17
	v_sub_f16_e32 v30, v15, v16
	v_fma_f16 v42, v42, -0.5, v40
	v_add_f16_e32 v44, v44, v50
	v_sub_f16_e32 v18, v5, v15
	v_fma_f16 v24, v24, -0.5, v40
	v_add_f16_e32 v29, v29, v30
	v_add_f16_e32 v30, v17, v16
	v_fma_f16 v45, v23, s3, v42
	v_sub_f16_e32 v50, v17, v5
	v_sub_f16_e32 v51, v16, v15
	v_fma_f16 v42, v23, s0, v42
	v_fma_f16 v28, v18, s0, v24
	v_fma_f16 v30, v30, -0.5, v14
	v_sub_f16_e32 v31, v39, v47
	v_fma_f16 v45, v18, s1, v45
	v_add_f16_e32 v50, v50, v51
	v_add_f16_e32 v51, v5, v15
	v_fma_f16 v42, v18, s4, v42
	v_fma_f16 v18, v18, s3, v24
	v_add_f16_e32 v5, v14, v5
	v_fma_f16 v28, v23, s1, v28
	v_fma_f16 v32, v31, s3, v30
	v_sub_f16_e32 v34, v41, v49
	v_fma_f16 v18, v23, s4, v18
	v_fma_f16 v23, v31, s0, v30
	v_add_f16_e32 v5, v5, v17
	v_fma_f16 v32, v34, s4, v32
	v_fma_f16 v51, v51, -0.5, v14
	v_fma_f16 v23, v34, s1, v23
	v_add_f16_e32 v5, v5, v16
	v_fma_f16 v32, v29, s2, v32
	v_fma_f16 v45, v37, s2, v45
	;; [unrolled: 1-line block ×6, first 2 shown]
	v_add_f16_e32 v24, v39, v40
	v_add_f16_e32 v14, v15, v5
	v_fma_f16 v52, v31, s4, v52
	v_fma_f16 v42, v31, s1, v42
	v_fma_f16 v28, v44, s2, v28
	v_fma_f16 v18, v44, s2, v18
	v_add_f16_e32 v24, v41, v24
	v_add_co_u32_e32 v3, vcc, s10, v3
	v_add_f16_e32 v24, v49, v24
	v_add_f16_e32 v24, v47, v24
	s_waitcnt vmcnt(0)
	v_lshrrev_b32_e32 v5, 16, v19
	v_lshrrev_b32_e32 v15, 16, v20
	;; [unrolled: 1-line block ×4, first 2 shown]
	v_mul_f16_e32 v29, v19, v38
	v_mul_f16_e32 v30, v20, v35
	;; [unrolled: 1-line block ×3, first 2 shown]
	s_waitcnt lgkmcnt(1)
	v_mul_f16_e32 v39, v21, v46
	v_fma_f16 v29, v10, v5, v29
	v_fma_f16 v30, v11, v15, v30
	;; [unrolled: 1-line block ×4, first 2 shown]
	v_sub_f16_e32 v31, v29, v30
	v_sub_f16_e32 v40, v34, v39
	v_mul_f16_e32 v15, v15, v35
	v_mul_f16_e32 v5, v5, v38
	v_add_f16_e32 v31, v31, v40
	v_fma_f16 v11, v11, v20, -v15
	v_mul_f16_e32 v15, v16, v46
	v_fma_f16 v5, v10, v19, -v5
	v_mul_f16_e32 v10, v17, v43
	v_sub_f16_e32 v38, v30, v29
	v_sub_f16_e32 v40, v39, v34
	v_fma_f16 v13, v13, v21, -v15
	v_fma_f16 v10, v12, v22, -v10
	v_add_f16_e32 v16, v30, v39
	v_add_f16_e32 v38, v38, v40
	v_add_f16_e32 v40, v29, v34
	v_sub_f16_e32 v15, v11, v13
	s_waitcnt lgkmcnt(0)
	v_fma_f16 v16, v16, -0.5, v0
	v_sub_f16_e32 v19, v5, v11
	v_sub_f16_e32 v20, v10, v13
	v_fma_f16 v40, v40, -0.5, v0
	v_sub_f16_e32 v43, v11, v5
	v_sub_f16_e32 v44, v13, v10
	v_add_f16_e32 v0, v29, v0
	v_sub_f16_e32 v12, v5, v10
	v_add_f16_e32 v19, v19, v20
	v_add_f16_e32 v20, v11, v13
	v_fma_f16 v41, v15, s3, v40
	v_add_f16_e32 v43, v43, v44
	v_add_f16_e32 v44, v5, v10
	v_fma_f16 v40, v15, s0, v40
	v_add_f16_e32 v0, v30, v0
	v_fma_f16 v17, v12, s0, v16
	v_fma_f16 v20, v20, -0.5, v9
	v_sub_f16_e32 v21, v29, v34
	v_sub_f16_e32 v35, v30, v39
	v_fma_f16 v41, v12, s1, v41
	v_fma_f16 v44, v44, -0.5, v9
	v_fma_f16 v40, v12, s4, v40
	v_fma_f16 v12, v12, s3, v16
	v_add_f16_e32 v0, v39, v0
	v_fma_f16 v17, v15, s1, v17
	v_fma_f16 v46, v35, s0, v44
	;; [unrolled: 1-line block ×4, first 2 shown]
	v_add_f16_e32 v16, v34, v0
	v_add_f16_e32 v0, v9, v5
	v_lshrrev_b32_e32 v5, 4, v7
	s_mov_b32 s0, 0x18618619
	v_mul_hi_u32 v5, v5, s0
	v_add_f16_e32 v0, v0, v11
	v_add_f16_e32 v0, v0, v13
	;; [unrolled: 1-line block ×3, first 2 shown]
	v_lshrrev_b32_e32 v0, 1, v5
	v_mul_u32_u24_e32 v0, 0x150, v0
	v_sub_u32_e32 v5, v7, v0
	v_mov_b32_e32 v0, s11
	v_addc_co_u32_e32 v4, vcc, v0, v4, vcc
	v_lshlrev_b64 v[0:1], 2, v[1:2]
	v_fma_f16 v41, v38, s2, v41
	v_add_co_u32_e32 v2, vcc, v3, v0
	v_addc_co_u32_e32 v3, vcc, v4, v1, vcc
	v_lshlrev_b32_e32 v0, 2, v5
	v_fma_f16 v38, v38, s2, v40
	v_fma_f16 v40, v35, s3, v44
	;; [unrolled: 1-line block ×3, first 2 shown]
	v_add_co_u32_e32 v0, vcc, v2, v0
	v_fma_f16 v40, v21, s1, v40
	v_fma_f16 v12, v31, s2, v12
	;; [unrolled: 1-line block ×3, first 2 shown]
	v_addc_co_u32_e32 v1, vcc, 0, v3, vcc
	v_pack_b32_f16 v4, v9, v16
	v_add_u32_e32 v5, 0x70, v7
	v_fma_f16 v46, v21, s4, v46
	v_fma_f16 v40, v43, s2, v40
	global_store_dword v[0:1], v4, off
	v_pack_b32_f16 v4, v15, v12
	v_lshrrev_b32_e32 v9, 4, v5
	v_fma_f16 v22, v21, s3, v20
	v_fma_f16 v46, v43, s2, v46
	global_store_dword v[0:1], v4, off offset:1344
	v_pack_b32_f16 v4, v40, v38
	v_mul_hi_u32 v9, v9, s0
	v_fma_f16 v22, v35, s4, v22
	global_store_dword v[0:1], v4, off offset:2688
	v_pack_b32_f16 v4, v46, v41
	s_movk_i32 s1, 0x1000
	v_fma_f16 v17, v31, s2, v17
	v_fma_f16 v22, v19, s2, v22
	global_store_dword v[0:1], v4, off offset:4032
	v_add_co_u32_e32 v0, vcc, s1, v0
	v_pack_b32_f16 v4, v22, v17
	v_addc_co_u32_e32 v1, vcc, 0, v1, vcc
	global_store_dword v[0:1], v4, off offset:1280
	v_lshrrev_b32_e32 v0, 1, v9
	v_mul_u32_u24_e32 v1, 0x150, v0
	v_sub_u32_e32 v1, v5, v1
	s_movk_i32 s1, 0x690
	v_mad_u32_u24 v5, v0, s1, v1
	v_lshlrev_b64 v[0:1], 2, v[5:6]
	v_pack_b32_f16 v4, v14, v24
	v_add_co_u32_e32 v0, vcc, v2, v0
	v_addc_co_u32_e32 v1, vcc, v3, v1, vcc
	global_store_dword v[0:1], v4, off
	v_add_u32_e32 v0, 0x150, v5
	v_mov_b32_e32 v1, v6
	v_lshlrev_b64 v[0:1], 2, v[0:1]
	v_pack_b32_f16 v4, v23, v18
	v_add_co_u32_e32 v0, vcc, v2, v0
	v_addc_co_u32_e32 v1, vcc, v3, v1, vcc
	global_store_dword v[0:1], v4, off
	v_add_u32_e32 v0, 0x2a0, v5
	v_mov_b32_e32 v1, v6
	v_lshlrev_b64 v[0:1], 2, v[0:1]
	v_fma_f16 v42, v50, s2, v42
	v_add_co_u32_e32 v0, vcc, v2, v0
	v_addc_co_u32_e32 v1, vcc, v3, v1, vcc
	v_pack_b32_f16 v4, v42, v37
	global_store_dword v[0:1], v4, off
	v_add_u32_e32 v0, 0x3f0, v5
	v_mov_b32_e32 v1, v6
	v_lshlrev_b64 v[0:1], 2, v[0:1]
	v_fma_f16 v52, v50, s2, v52
	v_add_co_u32_e32 v0, vcc, v2, v0
	v_addc_co_u32_e32 v1, vcc, v3, v1, vcc
	v_pack_b32_f16 v4, v52, v45
	global_store_dword v[0:1], v4, off
	v_add_u32_e32 v5, 0x540, v5
	v_add_u32_e32 v4, 0xe0, v7
	v_lshlrev_b64 v[0:1], 2, v[5:6]
	v_lshrrev_b32_e32 v5, 4, v4
	v_mul_hi_u32 v5, v5, s0
	v_add_co_u32_e32 v0, vcc, v2, v0
	v_addc_co_u32_e32 v1, vcc, v3, v1, vcc
	v_pack_b32_f16 v7, v32, v28
	global_store_dword v[0:1], v7, off
	v_lshrrev_b32_e32 v0, 1, v5
	v_mul_u32_u24_e32 v1, 0x150, v0
	v_sub_u32_e32 v1, v4, v1
	v_mad_u32_u24 v5, v0, s1, v1
	v_lshlrev_b64 v[0:1], 2, v[5:6]
	v_pack_b32_f16 v4, v8, v36
	v_add_co_u32_e32 v0, vcc, v2, v0
	v_addc_co_u32_e32 v1, vcc, v3, v1, vcc
	global_store_dword v[0:1], v4, off
	v_add_u32_e32 v0, 0x150, v5
	v_mov_b32_e32 v1, v6
	v_lshlrev_b64 v[0:1], 2, v[0:1]
	v_pack_b32_f16 v4, v33, v27
	v_add_co_u32_e32 v0, vcc, v2, v0
	v_addc_co_u32_e32 v1, vcc, v3, v1, vcc
	global_store_dword v[0:1], v4, off
	v_add_u32_e32 v0, 0x2a0, v5
	v_mov_b32_e32 v1, v6
	;; [unrolled: 7-line block ×3, first 2 shown]
	v_lshlrev_b64 v[0:1], 2, v[0:1]
	v_pack_b32_f16 v4, v56, v48
	v_add_co_u32_e32 v0, vcc, v2, v0
	v_addc_co_u32_e32 v1, vcc, v3, v1, vcc
	v_add_u32_e32 v5, 0x540, v5
	global_store_dword v[0:1], v4, off
	v_lshlrev_b64 v[0:1], 2, v[5:6]
	v_add_co_u32_e32 v0, vcc, v2, v0
	v_addc_co_u32_e32 v1, vcc, v3, v1, vcc
	v_pack_b32_f16 v2, v55, v53
	global_store_dword v[0:1], v2, off
.LBB0_53:
	s_endpgm
	.section	.rodata,"a",@progbits
	.p2align	6, 0x0
	.amdhsa_kernel fft_rtc_fwd_len1680_factors_2_2_2_2_3_7_5_wgs_112_tpt_112_halfLds_half_op_CI_CI_unitstride_sbrr_dirReg
		.amdhsa_group_segment_fixed_size 0
		.amdhsa_private_segment_fixed_size 0
		.amdhsa_kernarg_size 104
		.amdhsa_user_sgpr_count 6
		.amdhsa_user_sgpr_private_segment_buffer 1
		.amdhsa_user_sgpr_dispatch_ptr 0
		.amdhsa_user_sgpr_queue_ptr 0
		.amdhsa_user_sgpr_kernarg_segment_ptr 1
		.amdhsa_user_sgpr_dispatch_id 0
		.amdhsa_user_sgpr_flat_scratch_init 0
		.amdhsa_user_sgpr_private_segment_size 0
		.amdhsa_uses_dynamic_stack 0
		.amdhsa_system_sgpr_private_segment_wavefront_offset 0
		.amdhsa_system_sgpr_workgroup_id_x 1
		.amdhsa_system_sgpr_workgroup_id_y 0
		.amdhsa_system_sgpr_workgroup_id_z 0
		.amdhsa_system_sgpr_workgroup_info 0
		.amdhsa_system_vgpr_workitem_id 0
		.amdhsa_next_free_vgpr 74
		.amdhsa_next_free_sgpr 28
		.amdhsa_reserve_vcc 1
		.amdhsa_reserve_flat_scratch 0
		.amdhsa_float_round_mode_32 0
		.amdhsa_float_round_mode_16_64 0
		.amdhsa_float_denorm_mode_32 3
		.amdhsa_float_denorm_mode_16_64 3
		.amdhsa_dx10_clamp 1
		.amdhsa_ieee_mode 1
		.amdhsa_fp16_overflow 0
		.amdhsa_exception_fp_ieee_invalid_op 0
		.amdhsa_exception_fp_denorm_src 0
		.amdhsa_exception_fp_ieee_div_zero 0
		.amdhsa_exception_fp_ieee_overflow 0
		.amdhsa_exception_fp_ieee_underflow 0
		.amdhsa_exception_fp_ieee_inexact 0
		.amdhsa_exception_int_div_zero 0
	.end_amdhsa_kernel
	.text
.Lfunc_end0:
	.size	fft_rtc_fwd_len1680_factors_2_2_2_2_3_7_5_wgs_112_tpt_112_halfLds_half_op_CI_CI_unitstride_sbrr_dirReg, .Lfunc_end0-fft_rtc_fwd_len1680_factors_2_2_2_2_3_7_5_wgs_112_tpt_112_halfLds_half_op_CI_CI_unitstride_sbrr_dirReg
                                        ; -- End function
	.section	.AMDGPU.csdata,"",@progbits
; Kernel info:
; codeLenInByte = 12716
; NumSgprs: 32
; NumVgprs: 74
; ScratchSize: 0
; MemoryBound: 0
; FloatMode: 240
; IeeeMode: 1
; LDSByteSize: 0 bytes/workgroup (compile time only)
; SGPRBlocks: 3
; VGPRBlocks: 18
; NumSGPRsForWavesPerEU: 32
; NumVGPRsForWavesPerEU: 74
; Occupancy: 3
; WaveLimiterHint : 1
; COMPUTE_PGM_RSRC2:SCRATCH_EN: 0
; COMPUTE_PGM_RSRC2:USER_SGPR: 6
; COMPUTE_PGM_RSRC2:TRAP_HANDLER: 0
; COMPUTE_PGM_RSRC2:TGID_X_EN: 1
; COMPUTE_PGM_RSRC2:TGID_Y_EN: 0
; COMPUTE_PGM_RSRC2:TGID_Z_EN: 0
; COMPUTE_PGM_RSRC2:TIDIG_COMP_CNT: 0
	.type	__hip_cuid_4395eab448833076,@object ; @__hip_cuid_4395eab448833076
	.section	.bss,"aw",@nobits
	.globl	__hip_cuid_4395eab448833076
__hip_cuid_4395eab448833076:
	.byte	0                               ; 0x0
	.size	__hip_cuid_4395eab448833076, 1

	.ident	"AMD clang version 19.0.0git (https://github.com/RadeonOpenCompute/llvm-project roc-6.4.0 25133 c7fe45cf4b819c5991fe208aaa96edf142730f1d)"
	.section	".note.GNU-stack","",@progbits
	.addrsig
	.addrsig_sym __hip_cuid_4395eab448833076
	.amdgpu_metadata
---
amdhsa.kernels:
  - .args:
      - .actual_access:  read_only
        .address_space:  global
        .offset:         0
        .size:           8
        .value_kind:     global_buffer
      - .offset:         8
        .size:           8
        .value_kind:     by_value
      - .actual_access:  read_only
        .address_space:  global
        .offset:         16
        .size:           8
        .value_kind:     global_buffer
      - .actual_access:  read_only
        .address_space:  global
        .offset:         24
        .size:           8
        .value_kind:     global_buffer
      - .actual_access:  read_only
        .address_space:  global
        .offset:         32
        .size:           8
        .value_kind:     global_buffer
      - .offset:         40
        .size:           8
        .value_kind:     by_value
      - .actual_access:  read_only
        .address_space:  global
        .offset:         48
        .size:           8
        .value_kind:     global_buffer
      - .actual_access:  read_only
        .address_space:  global
        .offset:         56
        .size:           8
        .value_kind:     global_buffer
      - .offset:         64
        .size:           4
        .value_kind:     by_value
      - .actual_access:  read_only
        .address_space:  global
        .offset:         72
        .size:           8
        .value_kind:     global_buffer
      - .actual_access:  read_only
        .address_space:  global
        .offset:         80
        .size:           8
        .value_kind:     global_buffer
      - .actual_access:  read_only
        .address_space:  global
        .offset:         88
        .size:           8
        .value_kind:     global_buffer
      - .actual_access:  write_only
        .address_space:  global
        .offset:         96
        .size:           8
        .value_kind:     global_buffer
    .group_segment_fixed_size: 0
    .kernarg_segment_align: 8
    .kernarg_segment_size: 104
    .language:       OpenCL C
    .language_version:
      - 2
      - 0
    .max_flat_workgroup_size: 112
    .name:           fft_rtc_fwd_len1680_factors_2_2_2_2_3_7_5_wgs_112_tpt_112_halfLds_half_op_CI_CI_unitstride_sbrr_dirReg
    .private_segment_fixed_size: 0
    .sgpr_count:     32
    .sgpr_spill_count: 0
    .symbol:         fft_rtc_fwd_len1680_factors_2_2_2_2_3_7_5_wgs_112_tpt_112_halfLds_half_op_CI_CI_unitstride_sbrr_dirReg.kd
    .uniform_work_group_size: 1
    .uses_dynamic_stack: false
    .vgpr_count:     74
    .vgpr_spill_count: 0
    .wavefront_size: 64
amdhsa.target:   amdgcn-amd-amdhsa--gfx906
amdhsa.version:
  - 1
  - 2
...

	.end_amdgpu_metadata
